;; amdgpu-corpus repo=ROCm/rocFFT kind=compiled arch=gfx906 opt=O3
	.text
	.amdgcn_target "amdgcn-amd-amdhsa--gfx906"
	.amdhsa_code_object_version 6
	.protected	fft_rtc_fwd_len338_factors_13_2_13_wgs_52_tpt_26_halfLds_dp_op_CI_CI_unitstride_sbrr_R2C_dirReg ; -- Begin function fft_rtc_fwd_len338_factors_13_2_13_wgs_52_tpt_26_halfLds_dp_op_CI_CI_unitstride_sbrr_R2C_dirReg
	.globl	fft_rtc_fwd_len338_factors_13_2_13_wgs_52_tpt_26_halfLds_dp_op_CI_CI_unitstride_sbrr_R2C_dirReg
	.p2align	8
	.type	fft_rtc_fwd_len338_factors_13_2_13_wgs_52_tpt_26_halfLds_dp_op_CI_CI_unitstride_sbrr_R2C_dirReg,@function
fft_rtc_fwd_len338_factors_13_2_13_wgs_52_tpt_26_halfLds_dp_op_CI_CI_unitstride_sbrr_R2C_dirReg: ; @fft_rtc_fwd_len338_factors_13_2_13_wgs_52_tpt_26_halfLds_dp_op_CI_CI_unitstride_sbrr_R2C_dirReg
; %bb.0:
	s_load_dwordx4 s[8:11], s[4:5], 0x58
	s_load_dwordx4 s[12:15], s[4:5], 0x0
	;; [unrolled: 1-line block ×3, first 2 shown]
	v_mul_u32_u24_e32 v1, 0x9d9, v0
	v_lshrrev_b32_e32 v7, 16, v1
	v_mov_b32_e32 v3, 0
	s_waitcnt lgkmcnt(0)
	v_cmp_lt_u64_e64 s[0:1], s[14:15], 2
	v_mov_b32_e32 v1, 0
	v_lshl_add_u32 v5, s6, 1, v7
	v_mov_b32_e32 v6, v3
	s_and_b64 vcc, exec, s[0:1]
	v_mov_b32_e32 v2, 0
	s_cbranch_vccnz .LBB0_8
; %bb.1:
	s_load_dwordx2 s[0:1], s[4:5], 0x10
	s_add_u32 s2, s18, 8
	s_addc_u32 s3, s19, 0
	s_add_u32 s6, s16, 8
	v_mov_b32_e32 v1, 0
	s_addc_u32 s7, s17, 0
	v_mov_b32_e32 v2, 0
	s_waitcnt lgkmcnt(0)
	s_add_u32 s20, s0, 8
	v_mov_b32_e32 v57, v2
	s_addc_u32 s21, s1, 0
	s_mov_b64 s[22:23], 1
	v_mov_b32_e32 v56, v1
.LBB0_2:                                ; =>This Inner Loop Header: Depth=1
	s_load_dwordx2 s[24:25], s[20:21], 0x0
                                        ; implicit-def: $vgpr60_vgpr61
	s_waitcnt lgkmcnt(0)
	v_or_b32_e32 v4, s25, v6
	v_cmp_ne_u64_e32 vcc, 0, v[3:4]
	s_and_saveexec_b64 s[0:1], vcc
	s_xor_b64 s[26:27], exec, s[0:1]
	s_cbranch_execz .LBB0_4
; %bb.3:                                ;   in Loop: Header=BB0_2 Depth=1
	v_cvt_f32_u32_e32 v4, s24
	v_cvt_f32_u32_e32 v8, s25
	s_sub_u32 s0, 0, s24
	s_subb_u32 s1, 0, s25
	v_mac_f32_e32 v4, 0x4f800000, v8
	v_rcp_f32_e32 v4, v4
	v_mul_f32_e32 v4, 0x5f7ffffc, v4
	v_mul_f32_e32 v8, 0x2f800000, v4
	v_trunc_f32_e32 v8, v8
	v_mac_f32_e32 v4, 0xcf800000, v8
	v_cvt_u32_f32_e32 v8, v8
	v_cvt_u32_f32_e32 v4, v4
	v_mul_lo_u32 v9, s0, v8
	v_mul_hi_u32 v10, s0, v4
	v_mul_lo_u32 v12, s1, v4
	v_mul_lo_u32 v11, s0, v4
	v_add_u32_e32 v9, v10, v9
	v_add_u32_e32 v9, v9, v12
	v_mul_hi_u32 v10, v4, v11
	v_mul_lo_u32 v12, v4, v9
	v_mul_hi_u32 v14, v4, v9
	v_mul_hi_u32 v13, v8, v11
	v_mul_lo_u32 v11, v8, v11
	v_mul_hi_u32 v15, v8, v9
	v_add_co_u32_e32 v10, vcc, v10, v12
	v_addc_co_u32_e32 v12, vcc, 0, v14, vcc
	v_mul_lo_u32 v9, v8, v9
	v_add_co_u32_e32 v10, vcc, v10, v11
	v_addc_co_u32_e32 v10, vcc, v12, v13, vcc
	v_addc_co_u32_e32 v11, vcc, 0, v15, vcc
	v_add_co_u32_e32 v9, vcc, v10, v9
	v_addc_co_u32_e32 v10, vcc, 0, v11, vcc
	v_add_co_u32_e32 v4, vcc, v4, v9
	v_addc_co_u32_e32 v8, vcc, v8, v10, vcc
	v_mul_lo_u32 v9, s0, v8
	v_mul_hi_u32 v10, s0, v4
	v_mul_lo_u32 v11, s1, v4
	v_mul_lo_u32 v12, s0, v4
	v_add_u32_e32 v9, v10, v9
	v_add_u32_e32 v9, v9, v11
	v_mul_lo_u32 v13, v4, v9
	v_mul_hi_u32 v14, v4, v12
	v_mul_hi_u32 v15, v4, v9
	;; [unrolled: 1-line block ×3, first 2 shown]
	v_mul_lo_u32 v12, v8, v12
	v_mul_hi_u32 v10, v8, v9
	v_add_co_u32_e32 v13, vcc, v14, v13
	v_addc_co_u32_e32 v14, vcc, 0, v15, vcc
	v_mul_lo_u32 v9, v8, v9
	v_add_co_u32_e32 v12, vcc, v13, v12
	v_addc_co_u32_e32 v11, vcc, v14, v11, vcc
	v_addc_co_u32_e32 v10, vcc, 0, v10, vcc
	v_add_co_u32_e32 v9, vcc, v11, v9
	v_addc_co_u32_e32 v10, vcc, 0, v10, vcc
	v_add_co_u32_e32 v4, vcc, v4, v9
	v_addc_co_u32_e32 v10, vcc, v8, v10, vcc
	v_mad_u64_u32 v[8:9], s[0:1], v5, v10, 0
	v_mul_hi_u32 v11, v5, v4
	v_add_co_u32_e32 v12, vcc, v11, v8
	v_addc_co_u32_e32 v13, vcc, 0, v9, vcc
	v_mad_u64_u32 v[8:9], s[0:1], v6, v4, 0
	v_mad_u64_u32 v[10:11], s[0:1], v6, v10, 0
	v_add_co_u32_e32 v4, vcc, v12, v8
	v_addc_co_u32_e32 v4, vcc, v13, v9, vcc
	v_addc_co_u32_e32 v8, vcc, 0, v11, vcc
	v_add_co_u32_e32 v4, vcc, v4, v10
	v_addc_co_u32_e32 v10, vcc, 0, v8, vcc
	v_mul_lo_u32 v11, s25, v4
	v_mul_lo_u32 v12, s24, v10
	v_mad_u64_u32 v[8:9], s[0:1], s24, v4, 0
	v_add3_u32 v9, v9, v12, v11
	v_sub_u32_e32 v11, v6, v9
	v_mov_b32_e32 v12, s25
	v_sub_co_u32_e32 v8, vcc, v5, v8
	v_subb_co_u32_e64 v11, s[0:1], v11, v12, vcc
	v_subrev_co_u32_e64 v12, s[0:1], s24, v8
	v_subbrev_co_u32_e64 v11, s[0:1], 0, v11, s[0:1]
	v_cmp_le_u32_e64 s[0:1], s25, v11
	v_cndmask_b32_e64 v13, 0, -1, s[0:1]
	v_cmp_le_u32_e64 s[0:1], s24, v12
	v_cndmask_b32_e64 v12, 0, -1, s[0:1]
	v_cmp_eq_u32_e64 s[0:1], s25, v11
	v_cndmask_b32_e64 v11, v13, v12, s[0:1]
	v_add_co_u32_e64 v12, s[0:1], 2, v4
	v_addc_co_u32_e64 v13, s[0:1], 0, v10, s[0:1]
	v_add_co_u32_e64 v14, s[0:1], 1, v4
	v_addc_co_u32_e64 v15, s[0:1], 0, v10, s[0:1]
	v_subb_co_u32_e32 v9, vcc, v6, v9, vcc
	v_cmp_ne_u32_e64 s[0:1], 0, v11
	v_cmp_le_u32_e32 vcc, s25, v9
	v_cndmask_b32_e64 v11, v15, v13, s[0:1]
	v_cndmask_b32_e64 v13, 0, -1, vcc
	v_cmp_le_u32_e32 vcc, s24, v8
	v_cndmask_b32_e64 v8, 0, -1, vcc
	v_cmp_eq_u32_e32 vcc, s25, v9
	v_cndmask_b32_e32 v8, v13, v8, vcc
	v_cmp_ne_u32_e32 vcc, 0, v8
	v_cndmask_b32_e64 v8, v14, v12, s[0:1]
	v_cndmask_b32_e32 v61, v10, v11, vcc
	v_cndmask_b32_e32 v60, v4, v8, vcc
.LBB0_4:                                ;   in Loop: Header=BB0_2 Depth=1
	s_andn2_saveexec_b64 s[0:1], s[26:27]
	s_cbranch_execz .LBB0_6
; %bb.5:                                ;   in Loop: Header=BB0_2 Depth=1
	v_cvt_f32_u32_e32 v4, s24
	s_sub_i32 s26, 0, s24
	v_mov_b32_e32 v61, v3
	v_rcp_iflag_f32_e32 v4, v4
	v_mul_f32_e32 v4, 0x4f7ffffe, v4
	v_cvt_u32_f32_e32 v4, v4
	v_mul_lo_u32 v8, s26, v4
	v_mul_hi_u32 v8, v4, v8
	v_add_u32_e32 v4, v4, v8
	v_mul_hi_u32 v4, v5, v4
	v_mul_lo_u32 v8, v4, s24
	v_add_u32_e32 v9, 1, v4
	v_sub_u32_e32 v8, v5, v8
	v_subrev_u32_e32 v10, s24, v8
	v_cmp_le_u32_e32 vcc, s24, v8
	v_cndmask_b32_e32 v8, v8, v10, vcc
	v_cndmask_b32_e32 v4, v4, v9, vcc
	v_add_u32_e32 v9, 1, v4
	v_cmp_le_u32_e32 vcc, s24, v8
	v_cndmask_b32_e32 v60, v4, v9, vcc
.LBB0_6:                                ;   in Loop: Header=BB0_2 Depth=1
	s_or_b64 exec, exec, s[0:1]
	v_mul_lo_u32 v4, v61, s24
	v_mul_lo_u32 v10, v60, s25
	v_mad_u64_u32 v[8:9], s[0:1], v60, s24, 0
	s_load_dwordx2 s[0:1], s[6:7], 0x0
	s_load_dwordx2 s[24:25], s[2:3], 0x0
	v_add3_u32 v4, v9, v10, v4
	v_sub_co_u32_e32 v5, vcc, v5, v8
	v_subb_co_u32_e32 v4, vcc, v6, v4, vcc
	s_waitcnt lgkmcnt(0)
	v_mul_lo_u32 v6, s0, v4
	v_mul_lo_u32 v8, s1, v5
	v_mad_u64_u32 v[1:2], s[0:1], s0, v5, v[1:2]
	v_mul_lo_u32 v4, s24, v4
	v_mul_lo_u32 v9, s25, v5
	v_mad_u64_u32 v[56:57], s[0:1], s24, v5, v[56:57]
	s_add_u32 s22, s22, 1
	s_addc_u32 s23, s23, 0
	s_add_u32 s2, s2, 8
	v_add3_u32 v57, v9, v57, v4
	s_addc_u32 s3, s3, 0
	v_mov_b32_e32 v4, s14
	s_add_u32 s6, s6, 8
	v_mov_b32_e32 v5, s15
	s_addc_u32 s7, s7, 0
	v_cmp_ge_u64_e32 vcc, s[22:23], v[4:5]
	s_add_u32 s20, s20, 8
	v_add3_u32 v2, v8, v2, v6
	s_addc_u32 s21, s21, 0
	s_cbranch_vccnz .LBB0_9
; %bb.7:                                ;   in Loop: Header=BB0_2 Depth=1
	v_mov_b32_e32 v5, v60
	v_mov_b32_e32 v6, v61
	s_branch .LBB0_2
.LBB0_8:
	v_mov_b32_e32 v57, v2
	v_mov_b32_e32 v61, v6
	;; [unrolled: 1-line block ×4, first 2 shown]
.LBB0_9:
	s_load_dwordx2 s[2:3], s[4:5], 0x28
	s_lshl_b64 s[6:7], s[14:15], 3
	s_add_u32 s4, s18, s6
	v_and_b32_e32 v3, 1, v7
	s_addc_u32 s5, s19, s7
	s_waitcnt lgkmcnt(0)
	v_cmp_gt_u64_e64 s[0:1], s[2:3], v[60:61]
	v_cmp_le_u64_e64 s[2:3], s[2:3], v[60:61]
	v_cmp_eq_u32_e32 vcc, 1, v3
	v_mov_b32_e32 v3, 0x153
                                        ; implicit-def: $vgpr58
                                        ; implicit-def: $vgpr63
                                        ; implicit-def: $vgpr68
                                        ; implicit-def: $vgpr67
                                        ; implicit-def: $vgpr66
                                        ; implicit-def: $vgpr65
                                        ; implicit-def: $vgpr62
	s_and_saveexec_b64 s[14:15], s[2:3]
	s_xor_b64 s[2:3], exec, s[14:15]
; %bb.10:
	s_mov_b32 s14, 0x9d89d8a
	v_mul_hi_u32 v1, v0, s14
	v_mul_u32_u24_e32 v1, 26, v1
	v_sub_u32_e32 v58, v0, v1
	v_add_u32_e32 v63, 26, v58
	v_add_u32_e32 v68, 52, v58
	v_add_u32_e32 v67, 0x4e, v58
	v_add_u32_e32 v66, 0x68, v58
	v_add_u32_e32 v65, 0x82, v58
	v_add_u32_e32 v62, 0x9c, v58
                                        ; implicit-def: $vgpr0
                                        ; implicit-def: $vgpr1_vgpr2
; %bb.11:
	s_or_saveexec_b64 s[2:3], s[2:3]
	v_cndmask_b32_e32 v3, 0, v3, vcc
	v_lshlrev_b32_e32 v91, 4, v3
	s_xor_b64 exec, exec, s[2:3]
	s_cbranch_execz .LBB0_13
; %bb.12:
	s_add_u32 s6, s16, s6
	s_addc_u32 s7, s17, s7
	s_load_dwordx2 s[6:7], s[6:7], 0x0
	s_mov_b32 s14, 0x9d89d8a
	v_mul_hi_u32 v5, v0, s14
	s_waitcnt lgkmcnt(0)
	v_mul_lo_u32 v6, s7, v60
	v_mul_lo_u32 v7, s6, v61
	v_mad_u64_u32 v[3:4], s[6:7], s6, v60, 0
	v_mul_u32_u24_e32 v5, 26, v5
	v_sub_u32_e32 v58, v0, v5
	v_add3_u32 v4, v4, v7, v6
	v_lshlrev_b64 v[3:4], 4, v[3:4]
	v_mov_b32_e32 v0, s9
	v_add_co_u32_e32 v3, vcc, s8, v3
	v_addc_co_u32_e32 v4, vcc, v0, v4, vcc
	v_lshlrev_b64 v[0:1], 4, v[1:2]
	v_lshlrev_b32_e32 v59, 4, v58
	v_add_co_u32_e32 v0, vcc, v3, v0
	v_addc_co_u32_e32 v1, vcc, v4, v1, vcc
	v_add_co_u32_e32 v52, vcc, v0, v59
	v_addc_co_u32_e32 v53, vcc, 0, v1, vcc
	v_add_co_u32_e32 v54, vcc, 0x1000, v52
	global_load_dwordx4 v[0:3], v[52:53], off
	global_load_dwordx4 v[4:7], v[52:53], off offset:416
	global_load_dwordx4 v[8:11], v[52:53], off offset:832
	;; [unrolled: 1-line block ×7, first 2 shown]
	v_addc_co_u32_e32 v55, vcc, 0, v53, vcc
	global_load_dwordx4 v[32:35], v[52:53], off offset:3328
	global_load_dwordx4 v[36:39], v[52:53], off offset:3744
	global_load_dwordx4 v[40:43], v[54:55], off offset:64
	global_load_dwordx4 v[44:47], v[54:55], off offset:480
	global_load_dwordx4 v[48:51], v[54:55], off offset:896
	v_add_u32_e32 v63, 26, v58
	v_add_u32_e32 v68, 52, v58
	;; [unrolled: 1-line block ×5, first 2 shown]
	v_add3_u32 v52, 0, v91, v59
	v_add_u32_e32 v62, 0x9c, v58
	s_waitcnt vmcnt(12)
	ds_write_b128 v52, v[0:3]
	s_waitcnt vmcnt(11)
	ds_write_b128 v52, v[4:7] offset:416
	s_waitcnt vmcnt(10)
	ds_write_b128 v52, v[8:11] offset:832
	;; [unrolled: 2-line block ×12, first 2 shown]
.LBB0_13:
	s_or_b64 exec, exec, s[2:3]
	v_add_u32_e32 v89, 0, v91
	v_lshlrev_b32_e32 v59, 4, v58
	v_add_u32_e32 v90, v89, v59
	s_load_dwordx2 s[4:5], s[4:5], 0x0
	s_waitcnt lgkmcnt(0)
	; wave barrier
	s_waitcnt lgkmcnt(0)
	v_add3_u32 v64, 0, v59, v91
	ds_read_b128 v[20:23], v90
	ds_read_b128 v[0:3], v64 offset:416
	ds_read_b128 v[24:27], v64 offset:832
	;; [unrolled: 1-line block ×5, first 2 shown]
	s_mov_b32 s34, 0x42a4c3d2
	s_waitcnt lgkmcnt(4)
	v_add_f64 v[4:5], v[20:21], v[0:1]
	v_add_f64 v[6:7], v[22:23], v[2:3]
	s_mov_b32 s28, 0x66966769
	s_mov_b32 s8, 0x2ef20147
	s_mov_b32 s22, 0x24c2f84
	s_mov_b32 s30, 0x4bc48dbf
	s_mov_b32 s25, 0xbfddbe06
	s_mov_b32 s24, 0x4267c47c
	s_waitcnt lgkmcnt(3)
	v_add_f64 v[4:5], v[4:5], v[24:25]
	v_add_f64 v[6:7], v[6:7], v[26:27]
	s_mov_b32 s35, 0xbfea55e2
	s_mov_b32 s29, 0xbfefc445
	s_mov_b32 s9, 0xbfedeba7
	s_mov_b32 s23, 0xbfe5384d
	s_mov_b32 s31, 0xbfcea1e5
	;; [unrolled: 9-line block ×4, first 2 shown]
	s_mov_b32 s37, 0x3fe5384d
	s_waitcnt lgkmcnt(0)
	v_add_f64 v[44:45], v[4:5], v[12:13]
	v_add_f64 v[46:47], v[6:7], v[14:15]
	ds_read_b128 v[4:7], v64 offset:2496
	ds_read_b128 v[8:11], v64 offset:2912
	;; [unrolled: 1-line block ×5, first 2 shown]
	s_mov_b32 s36, s22
	s_mov_b32 s17, 0x3fefc445
	s_waitcnt lgkmcnt(2)
	v_add_f64 v[69:70], v[2:3], -v[38:39]
	v_add_f64 v[71:72], v[0:1], -v[36:37]
	v_add_f64 v[73:74], v[0:1], v[36:37]
	v_add_f64 v[52:53], v[44:45], v[4:5]
	;; [unrolled: 1-line block ×4, first 2 shown]
	ds_read_b128 v[44:47], v64 offset:4160
	ds_read_b128 v[48:51], v64 offset:4576
	s_mov_b32 s16, s28
	v_mul_f64 v[77:78], v[69:70], s[34:35]
	v_mul_f64 v[79:80], v[71:72], s[34:35]
	;; [unrolled: 1-line block ×3, first 2 shown]
	v_add_f64 v[0:1], v[52:53], v[8:9]
	v_add_f64 v[2:3], v[54:55], v[10:11]
	v_mul_f64 v[52:53], v[69:70], s[24:25]
	v_mul_f64 v[54:55], v[71:72], s[24:25]
	;; [unrolled: 1-line block ×5, first 2 shown]
	s_waitcnt lgkmcnt(0)
	v_add_f64 v[112:113], v[26:27], -v[50:51]
	v_add_f64 v[0:1], v[0:1], v[16:17]
	v_add_f64 v[2:3], v[2:3], v[18:19]
	v_add_f64 v[114:115], v[24:25], -v[48:49]
	v_fma_f64 v[92:93], v[73:74], s[18:19], -v[52:53]
	v_fma_f64 v[94:95], v[75:76], s[18:19], v[54:55]
	v_fma_f64 v[52:53], v[73:74], s[18:19], v[52:53]
	v_fma_f64 v[54:55], v[75:76], s[18:19], -v[54:55]
	v_fma_f64 v[96:97], v[73:74], s[14:15], -v[77:78]
	v_add_f64 v[0:1], v[0:1], v[40:41]
	v_add_f64 v[2:3], v[2:3], v[42:43]
	v_fma_f64 v[98:99], v[75:76], s[14:15], v[79:80]
	v_fma_f64 v[77:78], v[73:74], s[14:15], v[77:78]
	v_fma_f64 v[79:80], v[75:76], s[14:15], -v[79:80]
	v_fma_f64 v[100:101], v[73:74], s[2:3], -v[81:82]
	v_fma_f64 v[102:103], v[75:76], s[2:3], v[83:84]
	v_fma_f64 v[81:82], v[73:74], s[2:3], v[81:82]
	v_add_f64 v[0:1], v[0:1], v[44:45]
	v_add_f64 v[2:3], v[2:3], v[46:47]
	v_fma_f64 v[83:84], v[75:76], s[2:3], -v[83:84]
	v_fma_f64 v[104:105], v[73:74], s[6:7], -v[85:86]
	v_fma_f64 v[106:107], v[75:76], s[6:7], v[87:88]
	v_fma_f64 v[85:86], v[73:74], s[6:7], v[85:86]
	v_fma_f64 v[87:88], v[75:76], s[6:7], -v[87:88]
	v_add_f64 v[24:25], v[24:25], v[48:49]
	v_add_f64 v[0:1], v[0:1], v[48:49]
	;; [unrolled: 1-line block ×4, first 2 shown]
	v_mul_f64 v[48:49], v[112:113], s[34:35]
	v_mul_f64 v[50:51], v[114:115], s[34:35]
	v_add_f64 v[92:93], v[20:21], v[92:93]
	v_add_f64 v[94:95], v[22:23], v[94:95]
	;; [unrolled: 1-line block ×5, first 2 shown]
	v_mul_f64 v[36:37], v[69:70], s[22:23]
	v_mul_f64 v[38:39], v[71:72], s[22:23]
	;; [unrolled: 1-line block ×4, first 2 shown]
	v_add_f64 v[54:55], v[22:23], v[54:55]
	v_add_f64 v[96:97], v[20:21], v[96:97]
	v_add_f64 v[98:99], v[22:23], v[98:99]
	v_add_f64 v[77:78], v[20:21], v[77:78]
	v_fma_f64 v[108:109], v[73:74], s[20:21], -v[36:37]
	v_fma_f64 v[110:111], v[75:76], s[20:21], v[38:39]
	v_fma_f64 v[36:37], v[73:74], s[20:21], v[36:37]
	v_fma_f64 v[38:39], v[75:76], s[20:21], -v[38:39]
	v_fma_f64 v[116:117], v[73:74], s[26:27], -v[69:70]
	v_fma_f64 v[118:119], v[75:76], s[26:27], v[71:72]
	v_fma_f64 v[69:70], v[73:74], s[26:27], v[69:70]
	v_fma_f64 v[71:72], v[75:76], s[26:27], -v[71:72]
	v_add_f64 v[79:80], v[22:23], v[79:80]
	v_add_f64 v[100:101], v[20:21], v[100:101]
	;; [unrolled: 1-line block ×17, first 2 shown]
	v_fma_f64 v[69:70], v[24:25], s[14:15], -v[48:49]
	v_fma_f64 v[71:72], v[26:27], s[14:15], v[50:51]
	v_fma_f64 v[48:49], v[24:25], s[14:15], v[48:49]
	v_mul_f64 v[116:117], v[112:113], s[8:9]
	v_mul_f64 v[118:119], v[114:115], s[8:9]
	v_fma_f64 v[50:51], v[26:27], s[14:15], -v[50:51]
	s_mov_b32 s25, 0x3fddbe06
	s_mov_b32 s39, 0x3fedeba7
	v_add_f64 v[69:70], v[69:70], v[92:93]
	v_add_f64 v[71:72], v[71:72], v[94:95]
	;; [unrolled: 1-line block ×3, first 2 shown]
	v_fma_f64 v[52:53], v[24:25], s[6:7], -v[116:117]
	v_fma_f64 v[92:93], v[26:27], s[6:7], v[118:119]
	v_fma_f64 v[94:95], v[24:25], s[6:7], v[116:117]
	v_add_f64 v[50:51], v[50:51], v[54:55]
	v_mul_f64 v[54:55], v[112:113], s[30:31]
	v_mul_f64 v[116:117], v[114:115], s[30:31]
	s_mov_b32 s38, s8
	v_add_f64 v[52:53], v[52:53], v[96:97]
	v_add_f64 v[92:93], v[92:93], v[98:99]
	;; [unrolled: 1-line block ×3, first 2 shown]
	v_fma_f64 v[94:95], v[26:27], s[6:7], -v[118:119]
	v_fma_f64 v[96:97], v[24:25], s[26:27], -v[54:55]
	v_fma_f64 v[98:99], v[26:27], s[26:27], v[116:117]
	v_fma_f64 v[54:55], v[24:25], s[26:27], v[54:55]
	v_mul_f64 v[118:119], v[112:113], s[36:37]
	; wave barrier
	v_cmp_gt_u32_e32 vcc, 13, v58
	v_add_f64 v[79:80], v[94:95], v[79:80]
	v_add_f64 v[94:95], v[96:97], v[100:101]
	v_fma_f64 v[96:97], v[26:27], s[26:27], -v[116:117]
	v_mul_f64 v[100:101], v[114:115], s[36:37]
	v_add_f64 v[98:99], v[98:99], v[102:103]
	v_add_f64 v[54:55], v[54:55], v[81:82]
	v_fma_f64 v[81:82], v[24:25], s[20:21], -v[118:119]
	v_mul_f64 v[102:103], v[112:113], s[16:17]
	v_mul_f64 v[116:117], v[114:115], s[16:17]
	v_add_f64 v[83:84], v[96:97], v[83:84]
	v_fma_f64 v[96:97], v[26:27], s[20:21], v[100:101]
	v_fma_f64 v[100:101], v[26:27], s[20:21], -v[100:101]
	v_add_f64 v[81:82], v[81:82], v[104:105]
	v_fma_f64 v[104:105], v[24:25], s[20:21], v[118:119]
	v_fma_f64 v[118:119], v[24:25], s[2:3], -v[102:103]
	v_fma_f64 v[102:103], v[24:25], s[2:3], v[102:103]
	v_add_f64 v[96:97], v[96:97], v[106:107]
	v_fma_f64 v[106:107], v[26:27], s[2:3], v[116:117]
	v_add_f64 v[87:88], v[100:101], v[87:88]
	v_add_f64 v[85:86], v[104:105], v[85:86]
	;; [unrolled: 1-line block ×3, first 2 shown]
	v_add_f64 v[104:105], v[30:31], -v[46:47]
	v_add_f64 v[108:109], v[28:29], -v[44:45]
	v_add_f64 v[28:29], v[28:29], v[44:45]
	v_add_f64 v[106:107], v[106:107], v[110:111]
	v_mul_f64 v[110:111], v[112:113], s[24:25]
	v_mul_f64 v[112:113], v[114:115], s[24:25]
	v_add_f64 v[30:31], v[30:31], v[46:47]
	v_fma_f64 v[114:115], v[26:27], s[2:3], -v[116:117]
	v_mul_f64 v[44:45], v[104:105], s[28:29]
	v_mul_f64 v[46:47], v[108:109], s[28:29]
	v_add_f64 v[36:37], v[102:103], v[36:37]
	v_mul_f64 v[102:103], v[104:105], s[38:39]
	v_fma_f64 v[116:117], v[24:25], s[18:19], -v[110:111]
	v_fma_f64 v[118:119], v[26:27], s[18:19], v[112:113]
	v_fma_f64 v[24:25], v[24:25], s[18:19], v[110:111]
	v_fma_f64 v[26:27], v[26:27], s[18:19], -v[112:113]
	v_fma_f64 v[110:111], v[28:29], s[2:3], -v[44:45]
	v_fma_f64 v[112:113], v[30:31], s[2:3], v[46:47]
	v_fma_f64 v[44:45], v[28:29], s[2:3], v[44:45]
	v_add_f64 v[38:39], v[114:115], v[38:39]
	v_fma_f64 v[46:47], v[30:31], s[2:3], -v[46:47]
	v_add_f64 v[73:74], v[116:117], v[73:74]
	v_add_f64 v[20:21], v[24:25], v[20:21]
	v_add_f64 v[22:23], v[26:27], v[22:23]
	v_add_f64 v[24:25], v[110:111], v[69:70]
	v_add_f64 v[26:27], v[112:113], v[71:72]
	v_mul_f64 v[69:70], v[104:105], s[30:31]
	v_mul_f64 v[71:72], v[108:109], s[30:31]
	;; [unrolled: 1-line block ×3, first 2 shown]
	v_add_f64 v[44:45], v[44:45], v[48:49]
	v_fma_f64 v[48:49], v[28:29], s[6:7], -v[102:103]
	v_add_f64 v[46:47], v[46:47], v[50:51]
	v_add_f64 v[75:76], v[118:119], v[75:76]
	v_fma_f64 v[112:113], v[28:29], s[26:27], -v[69:70]
	v_fma_f64 v[114:115], v[30:31], s[26:27], v[71:72]
	v_fma_f64 v[69:70], v[28:29], s[26:27], v[69:70]
	v_fma_f64 v[71:72], v[30:31], s[26:27], -v[71:72]
	v_fma_f64 v[50:51], v[30:31], s[6:7], v[110:111]
	v_add_f64 v[48:49], v[48:49], v[94:95]
	v_fma_f64 v[94:95], v[28:29], s[6:7], v[102:103]
	v_mul_f64 v[102:103], v[104:105], s[34:35]
	v_add_f64 v[52:53], v[112:113], v[52:53]
	v_add_f64 v[92:93], v[114:115], v[92:93]
	;; [unrolled: 1-line block ×4, first 2 shown]
	v_mul_f64 v[77:78], v[104:105], s[24:25]
	v_mul_f64 v[79:80], v[108:109], s[24:25]
	v_add_f64 v[50:51], v[50:51], v[98:99]
	v_fma_f64 v[98:99], v[30:31], s[6:7], -v[110:111]
	v_mul_f64 v[110:111], v[108:109], s[34:35]
	v_add_f64 v[54:55], v[94:95], v[54:55]
	v_fma_f64 v[94:95], v[28:29], s[14:15], -v[102:103]
	v_fma_f64 v[102:103], v[28:29], s[14:15], v[102:103]
	v_fma_f64 v[112:113], v[28:29], s[18:19], -v[77:78]
	v_fma_f64 v[114:115], v[30:31], s[18:19], v[79:80]
	v_fma_f64 v[77:78], v[28:29], s[18:19], v[77:78]
	v_fma_f64 v[79:80], v[30:31], s[18:19], -v[79:80]
	v_add_f64 v[83:84], v[98:99], v[83:84]
	v_fma_f64 v[98:99], v[30:31], s[14:15], v[110:111]
	v_add_f64 v[94:95], v[94:95], v[100:101]
	v_add_f64 v[100:101], v[34:35], -v[42:43]
	v_add_f64 v[34:35], v[34:35], v[42:43]
	v_add_f64 v[36:37], v[102:103], v[36:37]
	;; [unrolled: 1-line block ×4, first 2 shown]
	v_mul_f64 v[85:86], v[104:105], s[22:23]
	v_mul_f64 v[87:88], v[108:109], s[22:23]
	v_add_f64 v[104:105], v[32:33], -v[40:41]
	v_add_f64 v[98:99], v[98:99], v[106:107]
	v_fma_f64 v[106:107], v[30:31], s[14:15], -v[110:111]
	v_add_f64 v[32:33], v[32:33], v[40:41]
	v_mul_f64 v[40:41], v[100:101], s[8:9]
	v_add_f64 v[81:82], v[112:113], v[81:82]
	v_fma_f64 v[108:109], v[28:29], s[20:21], -v[85:86]
	v_fma_f64 v[110:111], v[30:31], s[20:21], v[87:88]
	v_mul_f64 v[42:43], v[104:105], s[8:9]
	v_fma_f64 v[28:29], v[28:29], s[20:21], v[85:86]
	v_fma_f64 v[30:31], v[30:31], s[20:21], -v[87:88]
	v_add_f64 v[38:39], v[106:107], v[38:39]
	v_add_f64 v[96:97], v[114:115], v[96:97]
	;; [unrolled: 1-line block ×4, first 2 shown]
	v_fma_f64 v[73:74], v[32:33], s[6:7], -v[40:41]
	v_fma_f64 v[75:76], v[34:35], s[6:7], v[42:43]
	v_add_f64 v[20:21], v[28:29], v[20:21]
	v_add_f64 v[22:23], v[30:31], v[22:23]
	v_mul_f64 v[28:29], v[100:101], s[36:37]
	v_mul_f64 v[30:31], v[104:105], s[36:37]
	v_fma_f64 v[40:41], v[32:33], s[6:7], v[40:41]
	v_fma_f64 v[42:43], v[34:35], s[6:7], -v[42:43]
	v_add_f64 v[24:25], v[73:74], v[24:25]
	v_add_f64 v[26:27], v[75:76], v[26:27]
	v_mul_f64 v[73:74], v[100:101], s[24:25]
	v_mul_f64 v[75:76], v[104:105], s[24:25]
	v_fma_f64 v[102:103], v[32:33], s[20:21], -v[28:29]
	v_fma_f64 v[106:107], v[34:35], s[20:21], v[30:31]
	v_add_f64 v[40:41], v[40:41], v[44:45]
	v_add_f64 v[42:43], v[42:43], v[46:47]
	v_fma_f64 v[28:29], v[32:33], s[20:21], v[28:29]
	v_fma_f64 v[30:31], v[34:35], s[20:21], -v[30:31]
	v_fma_f64 v[44:45], v[32:33], s[18:19], -v[73:74]
	v_fma_f64 v[46:47], v[34:35], s[18:19], v[75:76]
	v_add_f64 v[102:103], v[102:103], v[52:53]
	v_add_f64 v[92:93], v[106:107], v[92:93]
	v_mul_f64 v[52:53], v[100:101], s[28:29]
	v_mul_f64 v[106:107], v[104:105], s[28:29]
	s_mov_b32 s37, 0x3fcea1e5
	s_mov_b32 s36, s30
	v_add_f64 v[28:29], v[28:29], v[69:70]
	v_add_f64 v[30:31], v[30:31], v[71:72]
	v_add_f64 v[69:70], v[44:45], v[48:49]
	v_add_f64 v[71:72], v[46:47], v[50:51]
	v_fma_f64 v[44:45], v[32:33], s[18:19], v[73:74]
	v_fma_f64 v[46:47], v[34:35], s[18:19], -v[75:76]
	v_fma_f64 v[48:49], v[32:33], s[2:3], -v[52:53]
	v_fma_f64 v[50:51], v[34:35], s[2:3], v[106:107]
	v_mul_f64 v[73:74], v[100:101], s[36:37]
	v_mul_f64 v[75:76], v[104:105], s[36:37]
	s_mov_b32 s29, 0x3fea55e2
	s_mov_b32 s28, s34
	v_add_f64 v[108:109], v[44:45], v[54:55]
	v_add_f64 v[83:84], v[46:47], v[83:84]
	;; [unrolled: 1-line block ×4, first 2 shown]
	v_fma_f64 v[44:45], v[32:33], s[26:27], -v[73:74]
	v_fma_f64 v[46:47], v[34:35], s[26:27], v[75:76]
	v_mul_f64 v[48:49], v[100:101], s[28:29]
	v_mul_f64 v[50:51], v[104:105], s[28:29]
	v_add_f64 v[100:101], v[14:15], -v[18:19]
	v_add_f64 v[104:105], v[12:13], -v[16:17]
	v_fma_f64 v[52:53], v[32:33], s[2:3], v[52:53]
	v_fma_f64 v[106:107], v[34:35], s[2:3], -v[106:107]
	v_add_f64 v[94:95], v[44:45], v[94:95]
	v_add_f64 v[98:99], v[46:47], v[98:99]
	v_fma_f64 v[44:45], v[32:33], s[26:27], v[73:74]
	v_fma_f64 v[46:47], v[34:35], s[26:27], -v[75:76]
	v_add_f64 v[73:74], v[12:13], v[16:17]
	v_add_f64 v[75:76], v[14:15], v[18:19]
	v_mul_f64 v[12:13], v[100:101], s[22:23]
	v_mul_f64 v[14:15], v[104:105], s[22:23]
	v_fma_f64 v[16:17], v[32:33], s[14:15], v[48:49]
	v_fma_f64 v[18:19], v[34:35], s[14:15], -v[50:51]
	v_add_f64 v[110:111], v[52:53], v[77:78]
	v_add_f64 v[106:107], v[106:107], v[79:80]
	v_fma_f64 v[77:78], v[32:33], s[14:15], -v[48:49]
	v_fma_f64 v[79:80], v[34:35], s[14:15], v[50:51]
	v_add_f64 v[52:53], v[44:45], v[36:37]
	v_add_f64 v[54:55], v[46:47], v[38:39]
	v_fma_f64 v[32:33], v[73:74], s[20:21], -v[12:13]
	v_fma_f64 v[34:35], v[75:76], s[20:21], v[14:15]
	v_add_f64 v[44:45], v[16:17], v[20:21]
	v_add_f64 v[46:47], v[18:19], v[22:23]
	v_mul_f64 v[16:17], v[100:101], s[16:17]
	v_mul_f64 v[18:19], v[104:105], s[16:17]
	v_fma_f64 v[12:13], v[73:74], s[20:21], v[12:13]
	v_fma_f64 v[14:15], v[75:76], s[20:21], -v[14:15]
	v_mul_f64 v[20:21], v[100:101], s[34:35]
	v_mul_f64 v[22:23], v[104:105], s[34:35]
	v_add_f64 v[48:49], v[32:33], v[24:25]
	v_add_f64 v[50:51], v[34:35], v[26:27]
	v_fma_f64 v[24:25], v[73:74], s[2:3], -v[16:17]
	v_fma_f64 v[26:27], v[75:76], s[2:3], v[18:19]
	v_add_f64 v[36:37], v[12:13], v[40:41]
	v_add_f64 v[38:39], v[14:15], v[42:43]
	v_fma_f64 v[12:13], v[73:74], s[2:3], v[16:17]
	v_fma_f64 v[14:15], v[75:76], s[2:3], -v[18:19]
	v_fma_f64 v[16:17], v[73:74], s[14:15], -v[20:21]
	v_fma_f64 v[18:19], v[75:76], s[14:15], v[22:23]
	v_mul_f64 v[32:33], v[100:101], s[36:37]
	v_mul_f64 v[34:35], v[104:105], s[36:37]
	v_add_f64 v[77:78], v[77:78], v[85:86]
	v_add_f64 v[79:80], v[79:80], v[87:88]
	;; [unrolled: 1-line block ×8, first 2 shown]
	v_fma_f64 v[12:13], v[73:74], s[14:15], v[20:21]
	v_fma_f64 v[16:17], v[73:74], s[26:27], -v[32:33]
	v_fma_f64 v[18:19], v[75:76], s[26:27], v[34:35]
	v_mul_f64 v[69:70], v[100:101], s[24:25]
	v_fma_f64 v[85:86], v[73:74], s[26:27], v[32:33]
	v_fma_f64 v[87:88], v[75:76], s[26:27], -v[34:35]
	v_fma_f64 v[14:15], v[75:76], s[14:15], -v[22:23]
	v_mul_f64 v[71:72], v[104:105], s[24:25]
	v_add_f64 v[32:33], v[12:13], v[108:109]
	v_add_f64 v[20:21], v[16:17], v[81:82]
	;; [unrolled: 1-line block ×3, first 2 shown]
	v_fma_f64 v[12:13], v[73:74], s[18:19], -v[69:70]
	v_add_f64 v[16:17], v[85:86], v[110:111]
	v_add_f64 v[18:19], v[87:88], v[106:107]
	v_mul_f64 v[85:86], v[100:101], s[8:9]
	v_mul_f64 v[87:88], v[104:105], s[8:9]
	v_add_f64 v[34:35], v[14:15], v[83:84]
	v_fma_f64 v[14:15], v[75:76], s[18:19], v[71:72]
	v_fma_f64 v[69:70], v[73:74], s[18:19], v[69:70]
	v_fma_f64 v[71:72], v[75:76], s[18:19], -v[71:72]
	v_add_f64 v[83:84], v[6:7], -v[10:11]
	v_add_f64 v[81:82], v[4:5], -v[8:9]
	v_add_f64 v[12:13], v[12:13], v[94:95]
	v_fma_f64 v[92:93], v[73:74], s[6:7], -v[85:86]
	v_fma_f64 v[94:95], v[75:76], s[6:7], v[87:88]
	v_add_f64 v[14:15], v[14:15], v[98:99]
	v_add_f64 v[52:53], v[69:70], v[52:53]
	v_add_f64 v[54:55], v[71:72], v[54:55]
	v_add_f64 v[71:72], v[4:5], v[8:9]
	v_add_f64 v[69:70], v[6:7], v[10:11]
	v_mul_f64 v[4:5], v[83:84], s[30:31]
	v_mul_f64 v[6:7], v[81:82], s[30:31]
	v_fma_f64 v[8:9], v[73:74], s[6:7], v[85:86]
	v_fma_f64 v[10:11], v[75:76], s[6:7], -v[87:88]
	v_add_f64 v[73:74], v[92:93], v[77:78]
	v_add_f64 v[75:76], v[94:95], v[79:80]
	v_mul_f64 v[77:78], v[83:84], s[24:25]
	v_mul_f64 v[79:80], v[81:82], s[24:25]
	v_fma_f64 v[85:86], v[71:72], s[26:27], -v[4:5]
	v_fma_f64 v[87:88], v[69:70], s[26:27], v[6:7]
	v_add_f64 v[92:93], v[8:9], v[44:45]
	v_add_f64 v[44:45], v[10:11], v[46:47]
	v_fma_f64 v[4:5], v[71:72], s[26:27], v[4:5]
	v_fma_f64 v[6:7], v[69:70], s[26:27], -v[6:7]
	v_fma_f64 v[46:47], v[71:72], s[18:19], -v[77:78]
	v_fma_f64 v[94:95], v[69:70], s[18:19], v[79:80]
	v_add_f64 v[8:9], v[85:86], v[48:49]
	v_add_f64 v[10:11], v[87:88], v[50:51]
	v_mul_f64 v[48:49], v[83:84], s[22:23]
	v_mul_f64 v[50:51], v[81:82], s[22:23]
	v_add_f64 v[4:5], v[4:5], v[36:37]
	v_add_f64 v[6:7], v[6:7], v[38:39]
	;; [unrolled: 1-line block ×4, first 2 shown]
	v_fma_f64 v[40:41], v[71:72], s[18:19], v[77:78]
	v_fma_f64 v[42:43], v[69:70], s[18:19], -v[79:80]
	v_mul_f64 v[79:80], v[83:84], s[28:29]
	v_mul_f64 v[85:86], v[81:82], s[28:29]
	v_fma_f64 v[46:47], v[71:72], s[20:21], -v[48:49]
	v_fma_f64 v[77:78], v[69:70], s[20:21], v[50:51]
	v_fma_f64 v[48:49], v[71:72], s[20:21], v[48:49]
	v_fma_f64 v[50:51], v[69:70], s[20:21], -v[50:51]
	v_add_f64 v[24:25], v[40:41], v[24:25]
	v_add_f64 v[26:27], v[42:43], v[26:27]
	v_fma_f64 v[40:41], v[71:72], s[14:15], -v[79:80]
	v_fma_f64 v[42:43], v[69:70], s[14:15], v[85:86]
	v_add_f64 v[28:29], v[46:47], v[28:29]
	v_add_f64 v[30:31], v[77:78], v[30:31]
	;; [unrolled: 1-line block ×4, first 2 shown]
	v_fma_f64 v[46:47], v[71:72], s[14:15], v[79:80]
	v_fma_f64 v[48:49], v[69:70], s[14:15], -v[85:86]
	v_mul_f64 v[50:51], v[83:84], s[8:9]
	v_mul_f64 v[77:78], v[81:82], s[8:9]
	v_add_f64 v[20:21], v[40:41], v[20:21]
	v_add_f64 v[22:23], v[42:43], v[22:23]
	v_mul_f64 v[40:41], v[83:84], s[16:17]
	v_mul_f64 v[42:43], v[81:82], s[16:17]
	v_add_f64 v[16:17], v[46:47], v[16:17]
	v_add_f64 v[18:19], v[48:49], v[18:19]
	v_fma_f64 v[46:47], v[71:72], s[6:7], -v[50:51]
	v_fma_f64 v[48:49], v[69:70], s[6:7], v[77:78]
	v_fma_f64 v[50:51], v[71:72], s[6:7], v[50:51]
	v_fma_f64 v[77:78], v[69:70], s[6:7], -v[77:78]
	v_fma_f64 v[79:80], v[71:72], s[2:3], -v[40:41]
	v_fma_f64 v[81:82], v[69:70], s[2:3], v[42:43]
	v_fma_f64 v[71:72], v[71:72], s[2:3], v[40:41]
	v_fma_f64 v[69:70], v[69:70], s[2:3], -v[42:43]
	v_add_f64 v[12:13], v[46:47], v[12:13]
	v_add_f64 v[14:15], v[48:49], v[14:15]
	s_movk_i32 s2, 0xc0
	v_add_f64 v[40:41], v[50:51], v[52:53]
	v_add_f64 v[46:47], v[79:80], v[73:74]
	;; [unrolled: 1-line block ×6, first 2 shown]
	v_mad_u32_u24 v44, v58, s2, v64
	v_lshl_add_u32 v73, v68, 4, v89
	v_lshl_add_u32 v71, v66, 4, v89
	ds_write_b128 v44, v[0:3]
	ds_write_b128 v44, v[8:11] offset:16
	ds_write_b128 v44, v[36:39] offset:32
	;; [unrolled: 1-line block ×12, first 2 shown]
	s_waitcnt lgkmcnt(0)
	; wave barrier
	s_waitcnt lgkmcnt(0)
	ds_read_b128 v[0:3], v90
	ds_read_b128 v[32:35], v64 offset:2704
	v_lshl_add_u32 v74, v63, 4, v89
	ds_read_b128 v[36:39], v64 offset:3120
	ds_read_b128 v[40:43], v64 offset:3536
	v_lshl_add_u32 v72, v67, 4, v89
	ds_read_b128 v[12:15], v73
	ds_read_b128 v[8:11], v72
	ds_read_b128 v[44:47], v64 offset:3952
	ds_read_b128 v[48:51], v64 offset:4368
	v_lshl_add_u32 v70, v65, 4, v89
	ds_read_b128 v[20:23], v71
	ds_read_b128 v[16:19], v70
	;; [unrolled: 1-line block ×3, first 2 shown]
	ds_read_b128 v[52:55], v64 offset:4784
	v_lshlrev_b32_e32 v69, 4, v62
                                        ; implicit-def: $vgpr26_vgpr27
	s_and_saveexec_b64 s[2:3], vcc
	s_cbranch_execz .LBB0_15
; %bb.14:
	v_add3_u32 v4, 0, v69, v91
	ds_read_b128 v[4:7], v4
	ds_read_b128 v[24:27], v64 offset:5200
.LBB0_15:
	s_or_b64 exec, exec, s[2:3]
	v_add_u32_e32 v75, -13, v58
	v_cndmask_b32_e32 v104, v75, v58, vcc
	v_mov_b32_e32 v105, 0
	v_lshlrev_b64 v[75:76], 4, v[104:105]
	s_movk_i32 s6, 0x4f
	v_add_co_u32_e64 v84, s[2:3], s12, v75
	v_mul_lo_u16_sdwa v75, v63, s6 dst_sel:DWORD dst_unused:UNUSED_PAD src0_sel:BYTE_0 src1_sel:DWORD
	v_lshrrev_b16_e32 v88, 10, v75
	v_mov_b32_e32 v77, s13
	v_mul_lo_u16_e32 v75, 13, v88
	v_addc_co_u32_e64 v85, s[2:3], v77, v76, s[2:3]
	v_sub_u16_e32 v76, v63, v75
	v_mov_b32_e32 v75, 4
	v_lshlrev_b32_sdwa v105, v75, v76 dst_sel:DWORD dst_unused:UNUSED_PAD src0_sel:DWORD src1_sel:BYTE_0
	global_load_dwordx4 v[76:79], v[84:85], off
	global_load_dwordx4 v[80:83], v105, s[12:13]
	v_mul_lo_u16_sdwa v84, v68, s6 dst_sel:DWORD dst_unused:UNUSED_PAD src0_sel:BYTE_0 src1_sel:DWORD
	v_lshrrev_b16_e32 v106, 10, v84
	v_mul_lo_u16_e32 v84, 13, v106
	v_sub_u16_e32 v84, v68, v84
	v_mul_lo_u16_sdwa v96, v66, s6 dst_sel:DWORD dst_unused:UNUSED_PAD src0_sel:BYTE_0 src1_sel:DWORD
	v_lshlrev_b32_sdwa v107, v75, v84 dst_sel:DWORD dst_unused:UNUSED_PAD src0_sel:DWORD src1_sel:BYTE_0
	v_mul_lo_u16_sdwa v84, v67, s6 dst_sel:DWORD dst_unused:UNUSED_PAD src0_sel:BYTE_0 src1_sel:DWORD
	v_lshrrev_b16_e32 v110, 10, v96
	v_lshrrev_b16_e32 v108, 10, v84
	v_mul_lo_u16_e32 v96, 13, v110
	v_mul_lo_u16_e32 v84, 13, v108
	v_sub_u16_e32 v96, v66, v96
	v_sub_u16_e32 v84, v67, v84
	v_lshlrev_b32_sdwa v111, v75, v96 dst_sel:DWORD dst_unused:UNUSED_PAD src0_sel:DWORD src1_sel:BYTE_0
	v_mul_lo_u16_sdwa v96, v65, s6 dst_sel:DWORD dst_unused:UNUSED_PAD src0_sel:BYTE_0 src1_sel:DWORD
	v_lshlrev_b32_sdwa v109, v75, v84 dst_sel:DWORD dst_unused:UNUSED_PAD src0_sel:DWORD src1_sel:BYTE_0
	global_load_dwordx4 v[84:87], v107, s[12:13]
	global_load_dwordx4 v[92:95], v109, s[12:13]
	v_lshrrev_b16_e32 v112, 10, v96
	v_mul_lo_u16_e32 v96, 13, v112
	v_sub_u16_e32 v100, v65, v96
	global_load_dwordx4 v[96:99], v111, s[12:13]
	v_lshlrev_b32_sdwa v113, v75, v100 dst_sel:DWORD dst_unused:UNUSED_PAD src0_sel:DWORD src1_sel:BYTE_0
	global_load_dwordx4 v[100:103], v113, s[12:13]
	v_mov_b32_e32 v114, 0x1a0
	v_cmp_lt_u32_e64 s[2:3], 12, v58
	v_cndmask_b32_e64 v114, 0, v114, s[2:3]
	s_movk_i32 s7, 0x1a0
	v_add_u32_e32 v114, 0, v114
	v_lshlrev_b32_e32 v104, 4, v104
	v_add3_u32 v116, v114, v104, v91
	v_mad_u32_u24 v88, v88, s7, 0
	v_mad_u32_u24 v104, v106, s7, 0
	v_add3_u32 v88, v88, v105, v91
	v_add3_u32 v117, v104, v107, v91
	v_mad_u32_u24 v106, v108, s7, 0
	v_mad_u32_u24 v108, v110, s7, 0
	v_add3_u32 v118, v106, v109, v91
	v_add3_u32 v119, v108, v111, v91
	v_mad_u32_u24 v110, v112, s7, 0
	v_add3_u32 v120, v110, v113, v91
	s_waitcnt lgkmcnt(0)
	; wave barrier
	s_waitcnt vmcnt(5) lgkmcnt(0)
	v_mul_f64 v[104:105], v[34:35], v[78:79]
	v_mul_f64 v[78:79], v[32:33], v[78:79]
	s_waitcnt vmcnt(4)
	v_mul_f64 v[106:107], v[38:39], v[82:83]
	v_mul_f64 v[82:83], v[36:37], v[82:83]
	v_fma_f64 v[32:33], v[32:33], v[76:77], -v[104:105]
	v_fma_f64 v[34:35], v[34:35], v[76:77], v[78:79]
	v_fma_f64 v[36:37], v[36:37], v[80:81], -v[106:107]
	v_fma_f64 v[38:39], v[38:39], v[80:81], v[82:83]
	v_add_f64 v[32:33], v[0:1], -v[32:33]
	s_waitcnt vmcnt(3)
	v_mul_f64 v[108:109], v[42:43], v[86:87]
	v_mul_f64 v[86:87], v[40:41], v[86:87]
	s_waitcnt vmcnt(2)
	v_mul_f64 v[110:111], v[46:47], v[94:95]
	v_mul_f64 v[94:95], v[44:45], v[94:95]
	v_add_f64 v[34:35], v[2:3], -v[34:35]
	s_waitcnt vmcnt(1)
	v_mul_f64 v[112:113], v[50:51], v[98:99]
	v_mul_f64 v[98:99], v[48:49], v[98:99]
	s_waitcnt vmcnt(0)
	v_mul_f64 v[114:115], v[54:55], v[102:103]
	v_mul_f64 v[102:103], v[52:53], v[102:103]
	v_fma_f64 v[40:41], v[40:41], v[84:85], -v[108:109]
	v_fma_f64 v[42:43], v[42:43], v[84:85], v[86:87]
	v_fma_f64 v[44:45], v[44:45], v[92:93], -v[110:111]
	v_fma_f64 v[46:47], v[46:47], v[92:93], v[94:95]
	;; [unrolled: 2-line block ×4, first 2 shown]
	v_add_f64 v[36:37], v[28:29], -v[36:37]
	v_add_f64 v[38:39], v[30:31], -v[38:39]
	;; [unrolled: 1-line block ×10, first 2 shown]
	v_fma_f64 v[0:1], v[0:1], 2.0, -v[32:33]
	v_fma_f64 v[2:3], v[2:3], 2.0, -v[34:35]
	;; [unrolled: 1-line block ×10, first 2 shown]
	ds_write_b128 v116, v[32:35] offset:208
	v_fma_f64 v[16:17], v[16:17], 2.0, -v[52:53]
	v_fma_f64 v[18:19], v[18:19], 2.0, -v[54:55]
	ds_write_b128 v116, v[0:3]
	ds_write_b128 v88, v[36:39] offset:208
	ds_write_b128 v88, v[28:31]
	ds_write_b128 v117, v[12:15]
	ds_write_b128 v117, v[40:43] offset:208
	ds_write_b128 v118, v[8:11]
	ds_write_b128 v118, v[44:47] offset:208
	ds_write_b128 v119, v[20:23]
	ds_write_b128 v119, v[48:51] offset:208
	ds_write_b128 v120, v[16:19]
	ds_write_b128 v120, v[52:55] offset:208
	s_and_saveexec_b64 s[2:3], vcc
	s_cbranch_execz .LBB0_17
; %bb.16:
	v_mul_lo_u16_sdwa v0, v62, s6 dst_sel:DWORD dst_unused:UNUSED_PAD src0_sel:BYTE_0 src1_sel:DWORD
	v_lshrrev_b16_e32 v0, 10, v0
	v_mul_lo_u16_e32 v0, 13, v0
	v_sub_u16_e32 v0, v62, v0
	v_lshlrev_b32_sdwa v10, v75, v0 dst_sel:DWORD dst_unused:UNUSED_PAD src0_sel:DWORD src1_sel:BYTE_0
	global_load_dwordx4 v[0:3], v10, s[12:13]
	s_waitcnt vmcnt(0)
	v_mul_f64 v[8:9], v[24:25], v[2:3]
	v_mul_f64 v[2:3], v[26:27], v[2:3]
	v_fma_f64 v[8:9], v[26:27], v[0:1], v[8:9]
	v_fma_f64 v[0:1], v[24:25], v[0:1], -v[2:3]
	v_add_f64 v[2:3], v[6:7], -v[8:9]
	v_add_f64 v[0:1], v[4:5], -v[0:1]
	v_add3_u32 v8, 0, v10, v91
	v_fma_f64 v[6:7], v[6:7], 2.0, -v[2:3]
	v_fma_f64 v[4:5], v[4:5], 2.0, -v[0:1]
	ds_write_b128 v8, v[4:7] offset:4992
	ds_write_b128 v8, v[0:3] offset:5200
.LBB0_17:
	s_or_b64 exec, exec, s[2:3]
	v_add3_u32 v20, 0, v69, v91
	s_waitcnt lgkmcnt(0)
	; wave barrier
	s_waitcnt lgkmcnt(0)
	ds_read_b128 v[4:7], v90
	ds_read_b128 v[0:3], v74
	;; [unrolled: 1-line block ×7, first 2 shown]
	ds_read_b128 v[44:47], v64 offset:2912
	ds_read_b128 v[48:51], v64 offset:3328
	;; [unrolled: 1-line block ×6, first 2 shown]
	v_mul_u32_u24_e32 v20, 12, v58
	v_lshlrev_b32_e32 v69, 4, v20
	global_load_dwordx4 v[20:23], v69, s[12:13] offset:256
	global_load_dwordx4 v[24:27], v69, s[12:13] offset:240
	;; [unrolled: 1-line block ×4, first 2 shown]
	s_mov_b32 s19, 0xbfddbe06
	s_mov_b32 s18, 0x4267c47c
	;; [unrolled: 1-line block ×21, first 2 shown]
	s_waitcnt vmcnt(0) lgkmcnt(11)
	v_mul_f64 v[87:88], v[2:3], v[42:43]
	v_fma_f64 v[87:88], v[0:1], v[40:41], -v[87:88]
	v_mul_f64 v[0:1], v[0:1], v[42:43]
	v_fma_f64 v[95:96], v[2:3], v[40:41], v[0:1]
	s_waitcnt lgkmcnt(10)
	v_mul_f64 v[0:1], v[10:11], v[34:35]
	v_fma_f64 v[42:43], v[8:9], v[32:33], -v[0:1]
	v_mul_f64 v[0:1], v[8:9], v[34:35]
	v_fma_f64 v[40:41], v[10:11], v[32:33], v[0:1]
	s_waitcnt lgkmcnt(9)
	;; [unrolled: 5-line block ×3, first 2 shown]
	v_mul_f64 v[0:1], v[18:19], v[22:23]
	v_fma_f64 v[26:27], v[16:17], v[20:21], -v[0:1]
	v_mul_f64 v[0:1], v[16:17], v[22:23]
	v_fma_f64 v[24:25], v[18:19], v[20:21], v[0:1]
	global_load_dwordx4 v[0:3], v69, s[12:13] offset:320
	global_load_dwordx4 v[91:94], v69, s[12:13] offset:304
	;; [unrolled: 1-line block ×4, first 2 shown]
	s_waitcnt vmcnt(3) lgkmcnt(4)
	v_mul_f64 v[18:19], v[50:51], v[2:3]
	v_mul_f64 v[2:3], v[48:49], v[2:3]
	s_waitcnt vmcnt(0)
	v_mul_f64 v[16:17], v[30:31], v[14:15]
	v_mul_f64 v[14:15], v[28:29], v[14:15]
	v_fma_f64 v[22:23], v[48:49], v[0:1], -v[18:19]
	v_fma_f64 v[18:19], v[50:51], v[0:1], v[2:3]
	v_fma_f64 v[20:21], v[28:29], v[12:13], -v[16:17]
	v_fma_f64 v[16:17], v[30:31], v[12:13], v[14:15]
	v_mul_f64 v[12:13], v[38:39], v[10:11]
	v_mul_f64 v[10:11], v[36:37], v[10:11]
	v_fma_f64 v[12:13], v[36:37], v[8:9], -v[12:13]
	v_fma_f64 v[8:9], v[38:39], v[8:9], v[10:11]
	v_mul_f64 v[10:11], v[46:47], v[93:94]
	v_fma_f64 v[14:15], v[44:45], v[91:92], -v[10:11]
	v_mul_f64 v[10:11], v[44:45], v[93:94]
	v_fma_f64 v[10:11], v[46:47], v[91:92], v[10:11]
	global_load_dwordx4 v[0:3], v69, s[12:13] offset:384
	global_load_dwordx4 v[48:51], v69, s[12:13] offset:368
	;; [unrolled: 1-line block ×4, first 2 shown]
	s_waitcnt lgkmcnt(0)
	; wave barrier
	s_waitcnt vmcnt(0) lgkmcnt(0)
	v_mul_f64 v[28:29], v[54:55], v[38:39]
	v_fma_f64 v[30:31], v[52:53], v[36:37], -v[28:29]
	v_mul_f64 v[28:29], v[52:53], v[38:39]
	v_fma_f64 v[28:29], v[54:55], v[36:37], v[28:29]
	v_mul_f64 v[36:37], v[77:78], v[46:47]
	v_fma_f64 v[38:39], v[75:76], v[44:45], -v[36:37]
	v_mul_f64 v[36:37], v[75:76], v[46:47]
	v_fma_f64 v[36:37], v[77:78], v[44:45], v[36:37]
	;; [unrolled: 4-line block ×3, first 2 shown]
	v_mul_f64 v[48:49], v[85:86], v[2:3]
	v_mul_f64 v[2:3], v[83:84], v[2:3]
	v_fma_f64 v[48:49], v[83:84], v[0:1], -v[48:49]
	v_fma_f64 v[50:51], v[85:86], v[0:1], v[2:3]
	v_add_f64 v[0:1], v[4:5], v[87:88]
	v_add_f64 v[2:3], v[6:7], v[95:96]
	;; [unrolled: 1-line block ×3, first 2 shown]
	v_add_f64 v[79:80], v[95:96], -v[50:51]
	v_add_f64 v[0:1], v[0:1], v[42:43]
	v_add_f64 v[2:3], v[2:3], v[40:41]
	v_add_f64 v[77:78], v[87:88], -v[48:49]
	v_add_f64 v[75:76], v[95:96], v[50:51]
	v_mul_f64 v[101:102], v[79:80], s[8:9]
	v_add_f64 v[0:1], v[0:1], v[34:35]
	v_add_f64 v[2:3], v[2:3], v[32:33]
	v_mul_f64 v[109:110], v[79:80], s[22:23]
	v_mul_f64 v[105:106], v[77:78], s[8:9]
	;; [unrolled: 1-line block ×3, first 2 shown]
	v_fma_f64 v[103:104], v[54:55], s[14:15], -v[101:102]
	v_add_f64 v[0:1], v[0:1], v[26:27]
	v_add_f64 v[2:3], v[2:3], v[24:25]
	v_fma_f64 v[101:102], v[54:55], s[14:15], v[101:102]
	v_fma_f64 v[111:112], v[54:55], s[20:21], -v[109:110]
	v_fma_f64 v[109:110], v[54:55], s[20:21], v[109:110]
	v_fma_f64 v[107:108], v[75:76], s[14:15], v[105:106]
	v_fma_f64 v[105:106], v[75:76], s[14:15], -v[105:106]
	v_add_f64 v[103:104], v[4:5], v[103:104]
	v_add_f64 v[0:1], v[0:1], v[20:21]
	;; [unrolled: 1-line block ×5, first 2 shown]
	v_fma_f64 v[115:116], v[75:76], s[20:21], v[113:114]
	v_add_f64 v[109:110], v[4:5], v[109:110]
	v_fma_f64 v[113:114], v[75:76], s[20:21], -v[113:114]
	v_add_f64 v[107:108], v[6:7], v[107:108]
	v_add_f64 v[0:1], v[0:1], v[12:13]
	;; [unrolled: 1-line block ×17, first 2 shown]
	v_mul_f64 v[48:49], v[79:80], s[18:19]
	v_add_f64 v[2:3], v[2:3], v[50:51]
	v_fma_f64 v[50:51], v[54:55], s[16:17], -v[48:49]
	v_fma_f64 v[48:49], v[54:55], s[16:17], v[48:49]
	v_add_f64 v[81:82], v[4:5], v[50:51]
	v_mul_f64 v[50:51], v[77:78], s[18:19]
	v_add_f64 v[85:86], v[4:5], v[48:49]
	s_mov_b32 s19, 0x3fddbe06
	v_fma_f64 v[48:49], v[75:76], s[16:17], -v[50:51]
	v_fma_f64 v[52:53], v[75:76], s[16:17], v[50:51]
	v_add_f64 v[87:88], v[6:7], v[48:49]
	v_mul_f64 v[48:49], v[79:80], s[28:29]
	v_add_f64 v[83:84], v[6:7], v[52:53]
	v_fma_f64 v[50:51], v[54:55], s[6:7], -v[48:49]
	v_fma_f64 v[48:49], v[54:55], s[6:7], v[48:49]
	v_add_f64 v[91:92], v[4:5], v[50:51]
	v_mul_f64 v[50:51], v[77:78], s[28:29]
	v_add_f64 v[95:96], v[4:5], v[48:49]
	v_fma_f64 v[52:53], v[75:76], s[6:7], v[50:51]
	v_fma_f64 v[48:49], v[75:76], s[6:7], -v[50:51]
	v_mul_f64 v[50:51], v[79:80], s[34:35]
	v_mul_f64 v[79:80], v[79:80], s[24:25]
	v_add_f64 v[93:94], v[6:7], v[52:53]
	v_add_f64 v[97:98], v[6:7], v[48:49]
	v_fma_f64 v[48:49], v[54:55], s[2:3], -v[50:51]
	v_mul_f64 v[52:53], v[77:78], s[34:35]
	v_fma_f64 v[50:51], v[54:55], s[2:3], v[50:51]
	v_fma_f64 v[117:118], v[54:55], s[26:27], -v[79:80]
	v_mul_f64 v[77:78], v[77:78], s[24:25]
	v_fma_f64 v[54:55], v[54:55], s[26:27], v[79:80]
	v_add_f64 v[99:100], v[4:5], v[48:49]
	v_fma_f64 v[48:49], v[75:76], s[2:3], v[52:53]
	v_add_f64 v[50:51], v[4:5], v[50:51]
	v_fma_f64 v[52:53], v[75:76], s[2:3], -v[52:53]
	v_add_f64 v[117:118], v[4:5], v[117:118]
	v_fma_f64 v[119:120], v[75:76], s[26:27], v[77:78]
	v_add_f64 v[4:5], v[4:5], v[54:55]
	v_fma_f64 v[54:55], v[75:76], s[26:27], -v[77:78]
	v_add_f64 v[75:76], v[40:41], v[44:45]
	v_add_f64 v[40:41], v[40:41], -v[44:45]
	v_add_f64 v[48:49], v[6:7], v[48:49]
	v_add_f64 v[52:53], v[6:7], v[52:53]
	;; [unrolled: 1-line block ×5, first 2 shown]
	v_add_f64 v[42:43], v[42:43], -v[46:47]
	v_mul_f64 v[44:45], v[40:41], s[28:29]
	v_mul_f64 v[77:78], v[42:43], s[28:29]
	v_fma_f64 v[46:47], v[54:55], s[6:7], -v[44:45]
	v_fma_f64 v[44:45], v[54:55], s[6:7], v[44:45]
	v_fma_f64 v[79:80], v[75:76], s[6:7], v[77:78]
	v_add_f64 v[46:47], v[46:47], v[81:82]
	v_mul_f64 v[81:82], v[40:41], s[8:9]
	v_add_f64 v[44:45], v[44:45], v[85:86]
	v_fma_f64 v[77:78], v[75:76], s[6:7], -v[77:78]
	v_mul_f64 v[85:86], v[42:43], s[8:9]
	v_add_f64 v[79:80], v[79:80], v[83:84]
	v_fma_f64 v[83:84], v[54:55], s[14:15], -v[81:82]
	v_fma_f64 v[81:82], v[54:55], s[14:15], v[81:82]
	v_add_f64 v[77:78], v[77:78], v[87:88]
	v_fma_f64 v[87:88], v[75:76], s[14:15], v[85:86]
	v_fma_f64 v[85:86], v[75:76], s[14:15], -v[85:86]
	v_add_f64 v[83:84], v[83:84], v[91:92]
	v_mul_f64 v[91:92], v[40:41], s[24:25]
	v_add_f64 v[81:82], v[81:82], v[95:96]
	v_add_f64 v[87:88], v[87:88], v[93:94]
	v_mul_f64 v[95:96], v[42:43], s[24:25]
	v_add_f64 v[85:86], v[85:86], v[97:98]
	v_fma_f64 v[93:94], v[54:55], s[26:27], -v[91:92]
	v_fma_f64 v[91:92], v[54:55], s[26:27], v[91:92]
	v_fma_f64 v[97:98], v[75:76], s[26:27], v[95:96]
	v_add_f64 v[93:94], v[93:94], v[99:100]
	v_add_f64 v[50:51], v[91:92], v[50:51]
	v_fma_f64 v[91:92], v[75:76], s[26:27], -v[95:96]
	v_add_f64 v[48:49], v[97:98], v[48:49]
	v_mul_f64 v[97:98], v[42:43], s[36:37]
	v_add_f64 v[52:53], v[91:92], v[52:53]
	v_mul_f64 v[91:92], v[40:41], s[36:37]
	v_fma_f64 v[99:100], v[75:76], s[20:21], v[97:98]
	v_fma_f64 v[97:98], v[75:76], s[20:21], -v[97:98]
	v_fma_f64 v[95:96], v[54:55], s[20:21], -v[91:92]
	v_fma_f64 v[91:92], v[54:55], s[20:21], v[91:92]
	v_add_f64 v[97:98], v[97:98], v[105:106]
	v_mul_f64 v[105:106], v[42:43], s[30:31]
	v_mul_f64 v[42:43], v[42:43], s[18:19]
	v_add_f64 v[99:100], v[99:100], v[107:108]
	v_add_f64 v[95:96], v[95:96], v[103:104]
	;; [unrolled: 1-line block ×3, first 2 shown]
	v_mul_f64 v[101:102], v[40:41], s[30:31]
	v_mul_f64 v[40:41], v[40:41], s[18:19]
	v_fma_f64 v[107:108], v[75:76], s[2:3], v[105:106]
	v_fma_f64 v[105:106], v[75:76], s[2:3], -v[105:106]
	v_fma_f64 v[103:104], v[54:55], s[2:3], -v[101:102]
	v_fma_f64 v[101:102], v[54:55], s[2:3], v[101:102]
	v_add_f64 v[107:108], v[107:108], v[115:116]
	v_add_f64 v[105:106], v[105:106], v[113:114]
	;; [unrolled: 1-line block ×4, first 2 shown]
	v_fma_f64 v[109:110], v[54:55], s[16:17], -v[40:41]
	v_fma_f64 v[40:41], v[54:55], s[16:17], v[40:41]
	v_fma_f64 v[111:112], v[75:76], s[16:17], v[42:43]
	v_add_f64 v[109:110], v[109:110], v[117:118]
	v_add_f64 v[4:5], v[40:41], v[4:5]
	v_fma_f64 v[40:41], v[75:76], s[16:17], -v[42:43]
	v_add_f64 v[42:43], v[32:33], v[36:37]
	v_add_f64 v[32:33], v[32:33], -v[36:37]
	v_add_f64 v[111:112], v[111:112], v[119:120]
	v_add_f64 v[6:7], v[40:41], v[6:7]
	;; [unrolled: 1-line block ×3, first 2 shown]
	v_mul_f64 v[36:37], v[32:33], s[34:35]
	v_add_f64 v[34:35], v[34:35], -v[38:39]
	v_fma_f64 v[38:39], v[40:41], s[2:3], -v[36:37]
	v_fma_f64 v[36:37], v[40:41], s[2:3], v[36:37]
	v_add_f64 v[38:39], v[38:39], v[46:47]
	v_mul_f64 v[46:47], v[34:35], s[34:35]
	v_add_f64 v[36:37], v[36:37], v[44:45]
	v_fma_f64 v[54:55], v[42:43], s[2:3], v[46:47]
	v_fma_f64 v[44:45], v[42:43], s[2:3], -v[46:47]
	v_mul_f64 v[46:47], v[32:33], s[24:25]
	v_add_f64 v[54:55], v[54:55], v[79:80]
	v_add_f64 v[44:45], v[44:45], v[77:78]
	v_fma_f64 v[75:76], v[40:41], s[26:27], -v[46:47]
	v_mul_f64 v[77:78], v[34:35], s[24:25]
	v_fma_f64 v[46:47], v[40:41], s[26:27], v[46:47]
	v_add_f64 v[75:76], v[75:76], v[83:84]
	v_fma_f64 v[79:80], v[42:43], s[26:27], v[77:78]
	v_add_f64 v[46:47], v[46:47], v[81:82]
	v_fma_f64 v[77:78], v[42:43], s[26:27], -v[77:78]
	v_mul_f64 v[81:82], v[32:33], s[38:39]
	v_add_f64 v[79:80], v[79:80], v[87:88]
	v_add_f64 v[77:78], v[77:78], v[85:86]
	v_fma_f64 v[83:84], v[40:41], s[14:15], -v[81:82]
	v_mul_f64 v[85:86], v[34:35], s[38:39]
	v_fma_f64 v[81:82], v[40:41], s[14:15], v[81:82]
	v_add_f64 v[83:84], v[83:84], v[93:94]
	v_fma_f64 v[87:88], v[42:43], s[14:15], v[85:86]
	v_add_f64 v[50:51], v[81:82], v[50:51]
	v_fma_f64 v[81:82], v[42:43], s[14:15], -v[85:86]
	v_add_f64 v[48:49], v[87:88], v[48:49]
	v_mul_f64 v[87:88], v[34:35], s[18:19]
	v_add_f64 v[52:53], v[81:82], v[52:53]
	v_mul_f64 v[81:82], v[32:33], s[18:19]
	v_fma_f64 v[93:94], v[42:43], s[16:17], v[87:88]
	v_fma_f64 v[87:88], v[42:43], s[16:17], -v[87:88]
	v_fma_f64 v[85:86], v[40:41], s[16:17], -v[81:82]
	v_fma_f64 v[81:82], v[40:41], s[16:17], v[81:82]
	v_add_f64 v[93:94], v[93:94], v[99:100]
	v_add_f64 v[87:88], v[87:88], v[97:98]
	;; [unrolled: 1-line block ×4, first 2 shown]
	v_mul_f64 v[91:92], v[32:33], s[28:29]
	v_mul_f64 v[32:33], v[32:33], s[22:23]
	;; [unrolled: 1-line block ×4, first 2 shown]
	v_fma_f64 v[95:96], v[40:41], s[6:7], -v[91:92]
	v_fma_f64 v[91:92], v[40:41], s[6:7], v[91:92]
	v_fma_f64 v[99:100], v[42:43], s[6:7], v[97:98]
	v_fma_f64 v[97:98], v[42:43], s[6:7], -v[97:98]
	v_add_f64 v[95:96], v[95:96], v[103:104]
	v_add_f64 v[91:92], v[91:92], v[101:102]
	v_fma_f64 v[101:102], v[40:41], s[20:21], -v[32:33]
	v_fma_f64 v[32:33], v[40:41], s[20:21], v[32:33]
	v_fma_f64 v[103:104], v[42:43], s[20:21], v[34:35]
	v_add_f64 v[99:100], v[99:100], v[107:108]
	v_add_f64 v[97:98], v[97:98], v[105:106]
	;; [unrolled: 1-line block ×4, first 2 shown]
	v_fma_f64 v[32:33], v[42:43], s[20:21], -v[34:35]
	v_add_f64 v[34:35], v[24:25], v[28:29]
	v_add_f64 v[24:25], v[24:25], -v[28:29]
	v_add_f64 v[103:104], v[103:104], v[111:112]
	v_add_f64 v[6:7], v[32:33], v[6:7]
	;; [unrolled: 1-line block ×3, first 2 shown]
	v_mul_f64 v[28:29], v[24:25], s[8:9]
	v_add_f64 v[26:27], v[26:27], -v[30:31]
	v_fma_f64 v[30:31], v[32:33], s[14:15], -v[28:29]
	v_fma_f64 v[28:29], v[32:33], s[14:15], v[28:29]
	v_add_f64 v[30:31], v[30:31], v[38:39]
	v_mul_f64 v[38:39], v[26:27], s[8:9]
	v_add_f64 v[28:29], v[28:29], v[36:37]
	v_fma_f64 v[40:41], v[34:35], s[14:15], v[38:39]
	v_fma_f64 v[36:37], v[34:35], s[14:15], -v[38:39]
	v_mul_f64 v[38:39], v[24:25], s[36:37]
	v_add_f64 v[40:41], v[40:41], v[54:55]
	v_add_f64 v[36:37], v[36:37], v[44:45]
	v_fma_f64 v[42:43], v[32:33], s[20:21], -v[38:39]
	v_mul_f64 v[44:45], v[26:27], s[36:37]
	v_fma_f64 v[38:39], v[32:33], s[20:21], v[38:39]
	s_mov_b32 s37, 0x3fcea1e5
	s_mov_b32 s36, s24
	v_add_f64 v[42:43], v[42:43], v[75:76]
	v_fma_f64 v[54:55], v[34:35], s[20:21], v[44:45]
	v_add_f64 v[38:39], v[38:39], v[46:47]
	v_fma_f64 v[44:45], v[34:35], s[20:21], -v[44:45]
	v_mul_f64 v[46:47], v[24:25], s[18:19]
	v_add_f64 v[54:55], v[54:55], v[79:80]
	v_add_f64 v[44:45], v[44:45], v[77:78]
	v_fma_f64 v[75:76], v[32:33], s[16:17], -v[46:47]
	v_mul_f64 v[77:78], v[26:27], s[18:19]
	v_fma_f64 v[46:47], v[32:33], s[16:17], v[46:47]
	v_add_f64 v[75:76], v[75:76], v[83:84]
	v_fma_f64 v[79:80], v[34:35], s[16:17], v[77:78]
	v_add_f64 v[46:47], v[46:47], v[50:51]
	v_fma_f64 v[50:51], v[34:35], s[16:17], -v[77:78]
	v_add_f64 v[48:49], v[79:80], v[48:49]
	v_mul_f64 v[79:80], v[26:27], s[34:35]
	v_add_f64 v[50:51], v[50:51], v[52:53]
	v_mul_f64 v[52:53], v[24:25], s[34:35]
	s_mov_b32 s35, 0x3fea55e2
	s_mov_b32 s34, s28
	v_fma_f64 v[83:84], v[34:35], s[2:3], v[79:80]
	v_fma_f64 v[79:80], v[34:35], s[2:3], -v[79:80]
	v_fma_f64 v[77:78], v[32:33], s[2:3], -v[52:53]
	v_fma_f64 v[52:53], v[32:33], s[2:3], v[52:53]
	v_add_f64 v[83:84], v[83:84], v[93:94]
	v_add_f64 v[79:80], v[79:80], v[87:88]
	;; [unrolled: 1-line block ×4, first 2 shown]
	v_mul_f64 v[81:82], v[24:25], s[36:37]
	v_mul_f64 v[24:25], v[24:25], s[34:35]
	;; [unrolled: 1-line block ×4, first 2 shown]
	v_fma_f64 v[85:86], v[32:33], s[26:27], -v[81:82]
	v_fma_f64 v[81:82], v[32:33], s[26:27], v[81:82]
	v_fma_f64 v[93:94], v[34:35], s[26:27], v[87:88]
	v_fma_f64 v[87:88], v[34:35], s[26:27], -v[87:88]
	v_add_f64 v[85:86], v[85:86], v[95:96]
	v_add_f64 v[81:82], v[81:82], v[91:92]
	v_fma_f64 v[91:92], v[32:33], s[6:7], -v[24:25]
	v_fma_f64 v[24:25], v[32:33], s[6:7], v[24:25]
	v_fma_f64 v[95:96], v[34:35], s[6:7], v[26:27]
	v_add_f64 v[93:94], v[93:94], v[99:100]
	v_add_f64 v[87:88], v[87:88], v[97:98]
	v_add_f64 v[99:100], v[8:9], -v[10:11]
	v_add_f64 v[97:98], v[12:13], -v[14:15]
	v_add_f64 v[91:92], v[91:92], v[101:102]
	v_add_f64 v[4:5], v[24:25], v[4:5]
	v_fma_f64 v[24:25], v[34:35], s[6:7], -v[26:27]
	v_add_f64 v[26:27], v[16:17], v[18:19]
	v_add_f64 v[16:17], v[16:17], -v[18:19]
	v_add_f64 v[95:96], v[95:96], v[103:104]
	v_add_f64 v[6:7], v[24:25], v[6:7]
	;; [unrolled: 1-line block ×3, first 2 shown]
	v_mul_f64 v[18:19], v[16:17], s[22:23]
	v_add_f64 v[20:21], v[20:21], -v[22:23]
	v_fma_f64 v[22:23], v[24:25], s[20:21], -v[18:19]
	v_fma_f64 v[18:19], v[24:25], s[20:21], v[18:19]
	v_add_f64 v[22:23], v[22:23], v[30:31]
	v_mul_f64 v[30:31], v[20:21], s[22:23]
	v_add_f64 v[18:19], v[18:19], v[28:29]
	v_fma_f64 v[32:33], v[26:27], s[20:21], v[30:31]
	v_fma_f64 v[28:29], v[26:27], s[20:21], -v[30:31]
	v_mul_f64 v[30:31], v[16:17], s[30:31]
	v_add_f64 v[32:33], v[32:33], v[40:41]
	v_add_f64 v[28:29], v[28:29], v[36:37]
	v_fma_f64 v[34:35], v[24:25], s[2:3], -v[30:31]
	v_mul_f64 v[36:37], v[20:21], s[30:31]
	v_fma_f64 v[30:31], v[24:25], s[2:3], v[30:31]
	v_add_f64 v[34:35], v[34:35], v[42:43]
	v_fma_f64 v[40:41], v[26:27], s[2:3], v[36:37]
	v_add_f64 v[30:31], v[30:31], v[38:39]
	v_fma_f64 v[36:37], v[26:27], s[2:3], -v[36:37]
	v_mul_f64 v[38:39], v[16:17], s[28:29]
	v_add_f64 v[40:41], v[40:41], v[54:55]
	v_add_f64 v[36:37], v[36:37], v[44:45]
	v_fma_f64 v[42:43], v[24:25], s[6:7], -v[38:39]
	v_mul_f64 v[44:45], v[20:21], s[28:29]
	v_fma_f64 v[38:39], v[24:25], s[6:7], v[38:39]
	v_add_f64 v[42:43], v[42:43], v[75:76]
	v_fma_f64 v[54:55], v[26:27], s[6:7], v[44:45]
	v_add_f64 v[38:39], v[38:39], v[46:47]
	v_fma_f64 v[44:45], v[26:27], s[6:7], -v[44:45]
	v_mul_f64 v[46:47], v[16:17], s[36:37]
	v_add_f64 v[48:49], v[54:55], v[48:49]
	v_mul_f64 v[54:55], v[20:21], s[36:37]
	v_add_f64 v[44:45], v[44:45], v[50:51]
	v_fma_f64 v[50:51], v[24:25], s[26:27], -v[46:47]
	v_fma_f64 v[46:47], v[24:25], s[26:27], v[46:47]
	v_fma_f64 v[75:76], v[26:27], s[26:27], v[54:55]
	v_add_f64 v[50:51], v[50:51], v[77:78]
	v_add_f64 v[46:47], v[46:47], v[52:53]
	v_fma_f64 v[52:53], v[26:27], s[26:27], -v[54:55]
	v_mul_f64 v[54:55], v[16:17], s[18:19]
	v_mul_f64 v[16:17], v[16:17], s[8:9]
	v_add_f64 v[75:76], v[75:76], v[83:84]
	v_add_f64 v[52:53], v[52:53], v[79:80]
	v_fma_f64 v[77:78], v[24:25], s[16:17], -v[54:55]
	v_mul_f64 v[79:80], v[20:21], s[18:19]
	v_fma_f64 v[54:55], v[24:25], s[16:17], v[54:55]
	v_mul_f64 v[20:21], v[20:21], s[8:9]
	v_add_f64 v[77:78], v[77:78], v[85:86]
	v_fma_f64 v[83:84], v[26:27], s[16:17], v[79:80]
	v_add_f64 v[54:55], v[54:55], v[81:82]
	v_fma_f64 v[79:80], v[26:27], s[16:17], -v[79:80]
	v_fma_f64 v[81:82], v[24:25], s[14:15], -v[16:17]
	v_fma_f64 v[85:86], v[26:27], s[14:15], v[20:21]
	v_fma_f64 v[16:17], v[24:25], s[14:15], v[16:17]
	v_mul_f64 v[24:25], v[99:100], s[22:23]
	v_add_f64 v[83:84], v[83:84], v[93:94]
	v_add_f64 v[93:94], v[12:13], v[14:15]
	;; [unrolled: 1-line block ×6, first 2 shown]
	v_fma_f64 v[4:5], v[26:27], s[14:15], -v[20:21]
	v_add_f64 v[95:96], v[8:9], v[10:11]
	v_mul_f64 v[8:9], v[99:100], s[24:25]
	v_mul_f64 v[10:11], v[97:98], s[24:25]
	;; [unrolled: 1-line block ×4, first 2 shown]
	v_fma_f64 v[20:21], v[93:94], s[20:21], -v[24:25]
	v_fma_f64 v[24:25], v[93:94], s[20:21], v[24:25]
	v_add_f64 v[91:92], v[4:5], v[6:7]
	v_fma_f64 v[4:5], v[93:94], s[26:27], -v[8:9]
	v_fma_f64 v[8:9], v[93:94], s[26:27], v[8:9]
	v_fma_f64 v[6:7], v[95:96], s[26:27], v[10:11]
	v_fma_f64 v[10:11], v[95:96], s[26:27], -v[10:11]
	v_fma_f64 v[12:13], v[93:94], s[16:17], -v[16:17]
	v_fma_f64 v[16:17], v[93:94], s[16:17], v[16:17]
	v_add_f64 v[20:21], v[20:21], v[42:43]
	v_mul_f64 v[42:43], v[97:98], s[8:9]
	v_add_f64 v[4:5], v[4:5], v[22:23]
	v_add_f64 v[8:9], v[8:9], v[18:19]
	v_mul_f64 v[18:19], v[97:98], s[18:19]
	v_add_f64 v[6:7], v[6:7], v[32:33]
	v_mul_f64 v[32:33], v[99:100], s[34:35]
	v_add_f64 v[10:11], v[10:11], v[28:29]
	v_fma_f64 v[22:23], v[95:96], s[20:21], v[26:27]
	v_add_f64 v[12:13], v[12:13], v[34:35]
	v_mul_f64 v[34:35], v[97:98], s[34:35]
	v_fma_f64 v[26:27], v[95:96], s[20:21], -v[26:27]
	v_fma_f64 v[14:15], v[95:96], s[16:17], v[18:19]
	v_fma_f64 v[18:19], v[95:96], s[16:17], -v[18:19]
	v_fma_f64 v[28:29], v[93:94], s[6:7], -v[32:33]
	v_fma_f64 v[32:33], v[93:94], s[6:7], v[32:33]
	v_add_f64 v[22:23], v[22:23], v[48:49]
	v_mul_f64 v[48:49], v[99:100], s[30:31]
	v_add_f64 v[16:17], v[16:17], v[30:31]
	v_fma_f64 v[30:31], v[95:96], s[6:7], v[34:35]
	v_add_f64 v[14:15], v[14:15], v[40:41]
	v_mul_f64 v[40:41], v[99:100], s[8:9]
	v_add_f64 v[28:29], v[28:29], v[50:51]
	v_mul_f64 v[50:51], v[97:98], s[30:31]
	v_add_f64 v[18:19], v[18:19], v[36:37]
	v_add_f64 v[24:25], v[24:25], v[38:39]
	v_fma_f64 v[38:39], v[95:96], s[14:15], v[42:43]
	v_add_f64 v[26:27], v[26:27], v[44:45]
	v_add_f64 v[32:33], v[32:33], v[46:47]
	v_fma_f64 v[36:37], v[93:94], s[14:15], -v[40:41]
	v_fma_f64 v[44:45], v[93:94], s[2:3], -v[48:49]
	v_fma_f64 v[46:47], v[95:96], s[2:3], v[50:51]
	v_fma_f64 v[48:49], v[93:94], s[2:3], v[48:49]
	v_fma_f64 v[50:51], v[95:96], s[2:3], -v[50:51]
	v_fma_f64 v[34:35], v[95:96], s[6:7], -v[34:35]
	v_fma_f64 v[40:41], v[93:94], s[14:15], v[40:41]
	v_fma_f64 v[42:43], v[95:96], s[14:15], -v[42:43]
	v_add_f64 v[30:31], v[30:31], v[75:76]
	v_add_f64 v[36:37], v[36:37], v[77:78]
	;; [unrolled: 1-line block ×10, first 2 shown]
	ds_write_b128 v64, v[0:3]
	ds_write_b128 v64, v[4:7] offset:416
	ds_write_b128 v64, v[12:15] offset:832
	;; [unrolled: 1-line block ×12, first 2 shown]
	s_waitcnt lgkmcnt(0)
	; wave barrier
	s_waitcnt lgkmcnt(0)
	ds_read_b128 v[4:7], v90
	s_add_u32 s8, s12, 0x1450
	s_addc_u32 s9, s13, 0
	v_sub_u32_e32 v10, v89, v59
	v_cmp_ne_u32_e64 s[2:3], 0, v58
                                        ; implicit-def: $vgpr2_vgpr3
                                        ; implicit-def: $vgpr8_vgpr9
	s_and_saveexec_b64 s[6:7], s[2:3]
	s_xor_b64 s[6:7], exec, s[6:7]
	s_cbranch_execz .LBB0_19
; %bb.18:
	v_mov_b32_e32 v59, 0
	v_lshlrev_b64 v[0:1], 4, v[58:59]
	v_mov_b32_e32 v2, s9
	v_add_co_u32_e64 v0, s[2:3], s8, v0
	v_addc_co_u32_e64 v1, s[2:3], v2, v1, s[2:3]
	global_load_dwordx4 v[11:14], v[0:1], off
	ds_read_b128 v[0:3], v10 offset:5408
	s_waitcnt lgkmcnt(0)
	v_add_f64 v[8:9], v[4:5], -v[0:1]
	v_add_f64 v[15:16], v[6:7], v[2:3]
	v_add_f64 v[2:3], v[6:7], -v[2:3]
	v_add_f64 v[0:1], v[4:5], v[0:1]
	v_mul_f64 v[6:7], v[8:9], 0.5
	v_mul_f64 v[4:5], v[15:16], 0.5
	;; [unrolled: 1-line block ×3, first 2 shown]
	s_waitcnt vmcnt(0)
	v_mul_f64 v[8:9], v[6:7], v[13:14]
	v_fma_f64 v[15:16], v[4:5], v[13:14], v[2:3]
	v_fma_f64 v[2:3], v[4:5], v[13:14], -v[2:3]
	v_fma_f64 v[17:18], v[0:1], 0.5, v[8:9]
	v_fma_f64 v[0:1], v[0:1], 0.5, -v[8:9]
	v_fma_f64 v[8:9], -v[11:12], v[6:7], v[15:16]
	v_fma_f64 v[2:3], -v[11:12], v[6:7], v[2:3]
	v_fma_f64 v[13:14], v[4:5], v[11:12], v[17:18]
	v_fma_f64 v[0:1], -v[4:5], v[11:12], v[0:1]
                                        ; implicit-def: $vgpr4_vgpr5
	ds_write_b64 v90, v[13:14]
.LBB0_19:
	s_andn2_saveexec_b64 s[2:3], s[6:7]
	s_cbranch_execz .LBB0_21
; %bb.20:
	s_waitcnt lgkmcnt(0)
	v_add_f64 v[2:3], v[4:5], v[6:7]
	ds_read_b64 v[11:12], v89 offset:2712
	v_add_f64 v[0:1], v[4:5], -v[6:7]
	v_mov_b32_e32 v8, 0
	v_mov_b32_e32 v9, 0
	s_waitcnt lgkmcnt(0)
	v_xor_b32_e32 v12, 0x80000000, v12
	ds_write_b64 v89, v[11:12] offset:2712
	ds_write_b64 v90, v[2:3]
	v_mov_b32_e32 v2, v8
	v_mov_b32_e32 v3, v9
.LBB0_21:
	s_or_b64 exec, exec, s[2:3]
	v_mov_b32_e32 v64, 0
	s_waitcnt lgkmcnt(0)
	v_lshlrev_b64 v[4:5], 4, v[63:64]
	v_mov_b32_e32 v6, s9
	v_add_co_u32_e64 v4, s[2:3], s8, v4
	v_addc_co_u32_e64 v5, s[2:3], v6, v5, s[2:3]
	global_load_dwordx4 v[4:7], v[4:5], off
	v_mov_b32_e32 v69, v64
	v_lshlrev_b64 v[11:12], 4, v[68:69]
	v_mov_b32_e32 v13, s9
	v_add_co_u32_e64 v11, s[2:3], s8, v11
	v_addc_co_u32_e64 v12, s[2:3], v13, v12, s[2:3]
	global_load_dwordx4 v[11:14], v[11:12], off
	ds_write_b64 v90, v[8:9] offset:8
	ds_write_b128 v10, v[0:3] offset:5408
	ds_read_b128 v[0:3], v74
	ds_read_b128 v[15:18], v10 offset:4992
	v_mov_b32_e32 v68, v64
	v_mov_b32_e32 v27, s9
	s_waitcnt lgkmcnt(0)
	v_add_f64 v[8:9], v[0:1], -v[15:16]
	v_add_f64 v[19:20], v[2:3], v[17:18]
	v_add_f64 v[2:3], v[2:3], -v[17:18]
	v_add_f64 v[0:1], v[0:1], v[15:16]
	v_lshlrev_b64 v[15:16], 4, v[67:68]
	v_mov_b32_e32 v67, v64
	v_mul_f64 v[17:18], v[8:9], 0.5
	v_mul_f64 v[19:20], v[19:20], 0.5
	;; [unrolled: 1-line block ×3, first 2 shown]
	s_waitcnt vmcnt(1)
	v_mul_f64 v[8:9], v[17:18], v[6:7]
	v_fma_f64 v[21:22], v[19:20], v[6:7], v[2:3]
	v_fma_f64 v[6:7], v[19:20], v[6:7], -v[2:3]
	v_fma_f64 v[23:24], v[0:1], 0.5, v[8:9]
	v_fma_f64 v[25:26], v[0:1], 0.5, -v[8:9]
	v_add_co_u32_e64 v0, s[2:3], s8, v15
	v_addc_co_u32_e64 v1, s[2:3], v27, v16, s[2:3]
	global_load_dwordx4 v[0:3], v[0:1], off
	v_fma_f64 v[8:9], -v[4:5], v[17:18], v[21:22]
	v_fma_f64 v[17:18], -v[4:5], v[17:18], v[6:7]
	v_fma_f64 v[6:7], v[19:20], v[4:5], v[23:24]
	v_fma_f64 v[15:16], -v[19:20], v[4:5], v[25:26]
	ds_write_b128 v74, v[6:9]
	ds_write_b128 v10, v[15:18] offset:4992
	ds_read_b128 v[4:7], v73
	ds_read_b128 v[15:18], v10 offset:4576
	s_waitcnt lgkmcnt(0)
	v_add_f64 v[8:9], v[4:5], -v[15:16]
	v_add_f64 v[19:20], v[6:7], v[17:18]
	v_add_f64 v[6:7], v[6:7], -v[17:18]
	v_add_f64 v[4:5], v[4:5], v[15:16]
	v_mul_f64 v[8:9], v[8:9], 0.5
	v_mul_f64 v[17:18], v[19:20], 0.5
	;; [unrolled: 1-line block ×3, first 2 shown]
	v_lshlrev_b64 v[19:20], 4, v[66:67]
	v_mov_b32_e32 v66, v64
	s_waitcnt vmcnt(1)
	v_mul_f64 v[15:16], v[8:9], v[13:14]
	v_fma_f64 v[21:22], v[17:18], v[13:14], v[6:7]
	v_fma_f64 v[13:14], v[17:18], v[13:14], -v[6:7]
	v_fma_f64 v[23:24], v[4:5], 0.5, v[15:16]
	v_fma_f64 v[25:26], v[4:5], 0.5, -v[15:16]
	v_add_co_u32_e64 v4, s[2:3], s8, v19
	v_addc_co_u32_e64 v5, s[2:3], v27, v20, s[2:3]
	global_load_dwordx4 v[4:7], v[4:5], off
	v_fma_f64 v[15:16], -v[11:12], v[8:9], v[21:22]
	v_fma_f64 v[19:20], -v[11:12], v[8:9], v[13:14]
	v_fma_f64 v[13:14], v[17:18], v[11:12], v[23:24]
	v_fma_f64 v[17:18], -v[17:18], v[11:12], v[25:26]
	ds_write_b128 v73, v[13:16]
	ds_write_b128 v10, v[17:20] offset:4576
	ds_read_b128 v[11:14], v72
	ds_read_b128 v[15:18], v10 offset:4160
	s_waitcnt lgkmcnt(0)
	v_add_f64 v[8:9], v[11:12], -v[15:16]
	v_add_f64 v[19:20], v[13:14], v[17:18]
	v_add_f64 v[13:14], v[13:14], -v[17:18]
	v_add_f64 v[11:12], v[11:12], v[15:16]
	v_lshlrev_b64 v[17:18], 4, v[65:66]
	v_mul_f64 v[8:9], v[8:9], 0.5
	v_mul_f64 v[19:20], v[19:20], 0.5
	v_mul_f64 v[13:14], v[13:14], 0.5
	s_waitcnt vmcnt(1)
	v_mul_f64 v[15:16], v[8:9], v[2:3]
	v_fma_f64 v[21:22], v[19:20], v[2:3], v[13:14]
	v_fma_f64 v[2:3], v[19:20], v[2:3], -v[13:14]
	v_fma_f64 v[23:24], v[11:12], 0.5, v[15:16]
	v_fma_f64 v[25:26], v[11:12], 0.5, -v[15:16]
	v_add_co_u32_e64 v11, s[2:3], s8, v17
	v_addc_co_u32_e64 v12, s[2:3], v27, v18, s[2:3]
	global_load_dwordx4 v[11:14], v[11:12], off
	v_fma_f64 v[17:18], -v[0:1], v[8:9], v[21:22]
	v_fma_f64 v[15:16], v[19:20], v[0:1], v[23:24]
	v_fma_f64 v[2:3], -v[0:1], v[8:9], v[2:3]
	v_fma_f64 v[0:1], -v[19:20], v[0:1], v[25:26]
	ds_write_b128 v72, v[15:18]
	ds_write_b128 v10, v[0:3] offset:4160
	ds_read_b128 v[0:3], v71
	ds_read_b128 v[15:18], v10 offset:3744
	s_waitcnt lgkmcnt(0)
	v_add_f64 v[8:9], v[0:1], -v[15:16]
	v_add_f64 v[19:20], v[2:3], v[17:18]
	v_add_f64 v[2:3], v[2:3], -v[17:18]
	v_add_f64 v[0:1], v[0:1], v[15:16]
	v_mul_f64 v[8:9], v[8:9], 0.5
	v_mul_f64 v[17:18], v[19:20], 0.5
	;; [unrolled: 1-line block ×3, first 2 shown]
	s_waitcnt vmcnt(1)
	v_mul_f64 v[15:16], v[8:9], v[6:7]
	v_fma_f64 v[19:20], v[17:18], v[6:7], v[2:3]
	v_fma_f64 v[6:7], v[17:18], v[6:7], -v[2:3]
	v_fma_f64 v[21:22], v[0:1], 0.5, v[15:16]
	v_fma_f64 v[15:16], v[0:1], 0.5, -v[15:16]
	v_fma_f64 v[2:3], -v[4:5], v[8:9], v[19:20]
	v_fma_f64 v[6:7], -v[4:5], v[8:9], v[6:7]
	v_fma_f64 v[0:1], v[17:18], v[4:5], v[21:22]
	v_fma_f64 v[4:5], -v[17:18], v[4:5], v[15:16]
	ds_write_b128 v71, v[0:3]
	ds_write_b128 v10, v[4:7] offset:3744
	ds_read_b128 v[0:3], v70
	ds_read_b128 v[4:7], v10 offset:3328
	s_waitcnt lgkmcnt(0)
	v_add_f64 v[8:9], v[0:1], -v[4:5]
	v_add_f64 v[15:16], v[2:3], v[6:7]
	v_add_f64 v[2:3], v[2:3], -v[6:7]
	v_add_f64 v[0:1], v[0:1], v[4:5]
	v_mul_f64 v[6:7], v[8:9], 0.5
	v_mul_f64 v[8:9], v[15:16], 0.5
	;; [unrolled: 1-line block ×3, first 2 shown]
	s_waitcnt vmcnt(0)
	v_mul_f64 v[4:5], v[6:7], v[13:14]
	v_fma_f64 v[15:16], v[8:9], v[13:14], v[2:3]
	v_fma_f64 v[13:14], v[8:9], v[13:14], -v[2:3]
	v_fma_f64 v[17:18], v[0:1], 0.5, v[4:5]
	v_fma_f64 v[4:5], v[0:1], 0.5, -v[4:5]
	v_fma_f64 v[2:3], -v[11:12], v[6:7], v[15:16]
	v_fma_f64 v[6:7], -v[11:12], v[6:7], v[13:14]
	v_fma_f64 v[0:1], v[8:9], v[11:12], v[17:18]
	v_fma_f64 v[4:5], -v[8:9], v[11:12], v[4:5]
	ds_write_b128 v70, v[0:3]
	ds_write_b128 v10, v[4:7] offset:3328
	s_and_saveexec_b64 s[2:3], vcc
	s_cbranch_execz .LBB0_23
; %bb.22:
	v_mov_b32_e32 v63, v64
	v_lshlrev_b64 v[0:1], 4, v[62:63]
	v_mov_b32_e32 v2, s9
	v_add_co_u32_e32 v0, vcc, s8, v0
	v_addc_co_u32_e32 v1, vcc, v2, v1, vcc
	global_load_dwordx4 v[0:3], v[0:1], off
	v_lshl_add_u32 v17, v62, 4, v89
	ds_read_b128 v[4:7], v17
	ds_read_b128 v[11:14], v10 offset:2912
	s_waitcnt lgkmcnt(0)
	v_add_f64 v[8:9], v[4:5], -v[11:12]
	v_add_f64 v[15:16], v[6:7], v[13:14]
	v_add_f64 v[6:7], v[6:7], -v[13:14]
	v_add_f64 v[4:5], v[4:5], v[11:12]
	v_mul_f64 v[8:9], v[8:9], 0.5
	v_mul_f64 v[13:14], v[15:16], 0.5
	;; [unrolled: 1-line block ×3, first 2 shown]
	s_waitcnt vmcnt(0)
	v_mul_f64 v[11:12], v[8:9], v[2:3]
	v_fma_f64 v[15:16], v[13:14], v[2:3], v[6:7]
	v_fma_f64 v[2:3], v[13:14], v[2:3], -v[6:7]
	v_fma_f64 v[6:7], v[4:5], 0.5, v[11:12]
	v_fma_f64 v[11:12], v[4:5], 0.5, -v[11:12]
	v_fma_f64 v[4:5], -v[0:1], v[8:9], v[15:16]
	v_fma_f64 v[8:9], -v[0:1], v[8:9], v[2:3]
	v_fma_f64 v[2:3], v[13:14], v[0:1], v[6:7]
	v_fma_f64 v[6:7], -v[13:14], v[0:1], v[11:12]
	ds_write_b128 v17, v[2:5]
	ds_write_b128 v10, v[6:9] offset:2912
.LBB0_23:
	s_or_b64 exec, exec, s[2:3]
	s_waitcnt lgkmcnt(0)
	; wave barrier
	s_waitcnt lgkmcnt(0)
	s_and_saveexec_b64 s[2:3], s[0:1]
	s_cbranch_execz .LBB0_26
; %bb.24:
	v_mul_lo_u32 v0, s5, v60
	v_mul_lo_u32 v3, s4, v61
	v_mad_u64_u32 v[1:2], s[0:1], s4, v60, 0
	v_mov_b32_e32 v7, s11
	v_mov_b32_e32 v59, 0
	v_add3_u32 v2, v2, v3, v0
	v_lshlrev_b64 v[1:2], 4, v[1:2]
	v_lshl_add_u32 v0, v58, 4, v89
	v_add_co_u32_e32 v1, vcc, s10, v1
	v_addc_co_u32_e32 v9, vcc, v7, v2, vcc
	v_lshlrev_b64 v[7:8], 4, v[56:57]
	ds_read_b128 v[3:6], v0
	v_add_co_u32_e32 v2, vcc, v1, v7
	v_addc_co_u32_e32 v1, vcc, v9, v8, vcc
	v_lshlrev_b64 v[7:8], 4, v[58:59]
	v_add_co_u32_e32 v11, vcc, v2, v7
	v_addc_co_u32_e32 v12, vcc, v1, v8, vcc
	ds_read_b128 v[7:10], v0 offset:416
	s_waitcnt lgkmcnt(1)
	global_store_dwordx4 v[11:12], v[3:6], off
	s_nop 0
	v_add_u32_e32 v3, 26, v58
	v_mov_b32_e32 v4, v59
	v_lshlrev_b64 v[3:4], 4, v[3:4]
	v_add_co_u32_e32 v3, vcc, v2, v3
	v_addc_co_u32_e32 v4, vcc, v1, v4, vcc
	s_waitcnt lgkmcnt(0)
	global_store_dwordx4 v[3:4], v[7:10], off
	ds_read_b128 v[3:6], v0 offset:832
	v_add_u32_e32 v7, 52, v58
	v_mov_b32_e32 v8, v59
	v_lshlrev_b64 v[7:8], 4, v[7:8]
	v_add_co_u32_e32 v11, vcc, v2, v7
	v_addc_co_u32_e32 v12, vcc, v1, v8, vcc
	ds_read_b128 v[7:10], v0 offset:1248
	s_waitcnt lgkmcnt(1)
	global_store_dwordx4 v[11:12], v[3:6], off
	s_nop 0
	v_add_u32_e32 v3, 0x4e, v58
	v_mov_b32_e32 v4, v59
	v_lshlrev_b64 v[3:4], 4, v[3:4]
	v_add_co_u32_e32 v3, vcc, v2, v3
	v_addc_co_u32_e32 v4, vcc, v1, v4, vcc
	s_waitcnt lgkmcnt(0)
	global_store_dwordx4 v[3:4], v[7:10], off
	ds_read_b128 v[3:6], v0 offset:1664
	v_add_u32_e32 v7, 0x68, v58
	v_mov_b32_e32 v8, v59
	;; [unrolled: 17-line block ×6, first 2 shown]
	v_lshlrev_b64 v[7:8], 4, v[7:8]
	v_add_co_u32_e32 v7, vcc, v2, v7
	v_addc_co_u32_e32 v8, vcc, v1, v8, vcc
	v_cmp_eq_u32_e32 vcc, 25, v58
	s_waitcnt lgkmcnt(0)
	global_store_dwordx4 v[7:8], v[3:6], off
	s_and_b64 exec, exec, vcc
	s_cbranch_execz .LBB0_26
; %bb.25:
	ds_read_b128 v[3:6], v0 offset:5008
	v_add_co_u32_e32 v0, vcc, 0x1000, v2
	v_addc_co_u32_e32 v1, vcc, 0, v1, vcc
	s_waitcnt lgkmcnt(0)
	global_store_dwordx4 v[0:1], v[3:6], off offset:1312
.LBB0_26:
	s_endpgm
	.section	.rodata,"a",@progbits
	.p2align	6, 0x0
	.amdhsa_kernel fft_rtc_fwd_len338_factors_13_2_13_wgs_52_tpt_26_halfLds_dp_op_CI_CI_unitstride_sbrr_R2C_dirReg
		.amdhsa_group_segment_fixed_size 0
		.amdhsa_private_segment_fixed_size 0
		.amdhsa_kernarg_size 104
		.amdhsa_user_sgpr_count 6
		.amdhsa_user_sgpr_private_segment_buffer 1
		.amdhsa_user_sgpr_dispatch_ptr 0
		.amdhsa_user_sgpr_queue_ptr 0
		.amdhsa_user_sgpr_kernarg_segment_ptr 1
		.amdhsa_user_sgpr_dispatch_id 0
		.amdhsa_user_sgpr_flat_scratch_init 0
		.amdhsa_user_sgpr_private_segment_size 0
		.amdhsa_uses_dynamic_stack 0
		.amdhsa_system_sgpr_private_segment_wavefront_offset 0
		.amdhsa_system_sgpr_workgroup_id_x 1
		.amdhsa_system_sgpr_workgroup_id_y 0
		.amdhsa_system_sgpr_workgroup_id_z 0
		.amdhsa_system_sgpr_workgroup_info 0
		.amdhsa_system_vgpr_workitem_id 0
		.amdhsa_next_free_vgpr 121
		.amdhsa_next_free_sgpr 40
		.amdhsa_reserve_vcc 1
		.amdhsa_reserve_flat_scratch 0
		.amdhsa_float_round_mode_32 0
		.amdhsa_float_round_mode_16_64 0
		.amdhsa_float_denorm_mode_32 3
		.amdhsa_float_denorm_mode_16_64 3
		.amdhsa_dx10_clamp 1
		.amdhsa_ieee_mode 1
		.amdhsa_fp16_overflow 0
		.amdhsa_exception_fp_ieee_invalid_op 0
		.amdhsa_exception_fp_denorm_src 0
		.amdhsa_exception_fp_ieee_div_zero 0
		.amdhsa_exception_fp_ieee_overflow 0
		.amdhsa_exception_fp_ieee_underflow 0
		.amdhsa_exception_fp_ieee_inexact 0
		.amdhsa_exception_int_div_zero 0
	.end_amdhsa_kernel
	.text
.Lfunc_end0:
	.size	fft_rtc_fwd_len338_factors_13_2_13_wgs_52_tpt_26_halfLds_dp_op_CI_CI_unitstride_sbrr_R2C_dirReg, .Lfunc_end0-fft_rtc_fwd_len338_factors_13_2_13_wgs_52_tpt_26_halfLds_dp_op_CI_CI_unitstride_sbrr_R2C_dirReg
                                        ; -- End function
	.section	.AMDGPU.csdata,"",@progbits
; Kernel info:
; codeLenInByte = 13256
; NumSgprs: 44
; NumVgprs: 121
; ScratchSize: 0
; MemoryBound: 0
; FloatMode: 240
; IeeeMode: 1
; LDSByteSize: 0 bytes/workgroup (compile time only)
; SGPRBlocks: 5
; VGPRBlocks: 30
; NumSGPRsForWavesPerEU: 44
; NumVGPRsForWavesPerEU: 121
; Occupancy: 2
; WaveLimiterHint : 1
; COMPUTE_PGM_RSRC2:SCRATCH_EN: 0
; COMPUTE_PGM_RSRC2:USER_SGPR: 6
; COMPUTE_PGM_RSRC2:TRAP_HANDLER: 0
; COMPUTE_PGM_RSRC2:TGID_X_EN: 1
; COMPUTE_PGM_RSRC2:TGID_Y_EN: 0
; COMPUTE_PGM_RSRC2:TGID_Z_EN: 0
; COMPUTE_PGM_RSRC2:TIDIG_COMP_CNT: 0
	.type	__hip_cuid_4de613df73efdfaa,@object ; @__hip_cuid_4de613df73efdfaa
	.section	.bss,"aw",@nobits
	.globl	__hip_cuid_4de613df73efdfaa
__hip_cuid_4de613df73efdfaa:
	.byte	0                               ; 0x0
	.size	__hip_cuid_4de613df73efdfaa, 1

	.ident	"AMD clang version 19.0.0git (https://github.com/RadeonOpenCompute/llvm-project roc-6.4.0 25133 c7fe45cf4b819c5991fe208aaa96edf142730f1d)"
	.section	".note.GNU-stack","",@progbits
	.addrsig
	.addrsig_sym __hip_cuid_4de613df73efdfaa
	.amdgpu_metadata
---
amdhsa.kernels:
  - .args:
      - .actual_access:  read_only
        .address_space:  global
        .offset:         0
        .size:           8
        .value_kind:     global_buffer
      - .offset:         8
        .size:           8
        .value_kind:     by_value
      - .actual_access:  read_only
        .address_space:  global
        .offset:         16
        .size:           8
        .value_kind:     global_buffer
      - .actual_access:  read_only
        .address_space:  global
        .offset:         24
        .size:           8
        .value_kind:     global_buffer
      - .actual_access:  read_only
        .address_space:  global
        .offset:         32
        .size:           8
        .value_kind:     global_buffer
      - .offset:         40
        .size:           8
        .value_kind:     by_value
      - .actual_access:  read_only
        .address_space:  global
        .offset:         48
        .size:           8
        .value_kind:     global_buffer
      - .actual_access:  read_only
        .address_space:  global
        .offset:         56
        .size:           8
        .value_kind:     global_buffer
      - .offset:         64
        .size:           4
        .value_kind:     by_value
      - .actual_access:  read_only
        .address_space:  global
        .offset:         72
        .size:           8
        .value_kind:     global_buffer
      - .actual_access:  read_only
        .address_space:  global
        .offset:         80
        .size:           8
        .value_kind:     global_buffer
      - .actual_access:  read_only
        .address_space:  global
        .offset:         88
        .size:           8
        .value_kind:     global_buffer
      - .actual_access:  write_only
        .address_space:  global
        .offset:         96
        .size:           8
        .value_kind:     global_buffer
    .group_segment_fixed_size: 0
    .kernarg_segment_align: 8
    .kernarg_segment_size: 104
    .language:       OpenCL C
    .language_version:
      - 2
      - 0
    .max_flat_workgroup_size: 52
    .name:           fft_rtc_fwd_len338_factors_13_2_13_wgs_52_tpt_26_halfLds_dp_op_CI_CI_unitstride_sbrr_R2C_dirReg
    .private_segment_fixed_size: 0
    .sgpr_count:     44
    .sgpr_spill_count: 0
    .symbol:         fft_rtc_fwd_len338_factors_13_2_13_wgs_52_tpt_26_halfLds_dp_op_CI_CI_unitstride_sbrr_R2C_dirReg.kd
    .uniform_work_group_size: 1
    .uses_dynamic_stack: false
    .vgpr_count:     121
    .vgpr_spill_count: 0
    .wavefront_size: 64
amdhsa.target:   amdgcn-amd-amdhsa--gfx906
amdhsa.version:
  - 1
  - 2
...

	.end_amdgpu_metadata
